;; amdgpu-corpus repo=ROCm/rocFFT kind=compiled arch=gfx1030 opt=O3
	.text
	.amdgcn_target "amdgcn-amd-amdhsa--gfx1030"
	.amdhsa_code_object_version 6
	.protected	fft_rtc_back_len3600_factors_10_10_6_6_wgs_120_tpt_120_halfLds_half_ip_CI_sbrr_dirReg ; -- Begin function fft_rtc_back_len3600_factors_10_10_6_6_wgs_120_tpt_120_halfLds_half_ip_CI_sbrr_dirReg
	.globl	fft_rtc_back_len3600_factors_10_10_6_6_wgs_120_tpt_120_halfLds_half_ip_CI_sbrr_dirReg
	.p2align	8
	.type	fft_rtc_back_len3600_factors_10_10_6_6_wgs_120_tpt_120_halfLds_half_ip_CI_sbrr_dirReg,@function
fft_rtc_back_len3600_factors_10_10_6_6_wgs_120_tpt_120_halfLds_half_ip_CI_sbrr_dirReg: ; @fft_rtc_back_len3600_factors_10_10_6_6_wgs_120_tpt_120_halfLds_half_ip_CI_sbrr_dirReg
; %bb.0:
	s_clause 0x2
	s_load_dwordx2 s[14:15], s[4:5], 0x18
	s_load_dwordx4 s[8:11], s[4:5], 0x0
	s_load_dwordx2 s[12:13], s[4:5], 0x50
	v_mul_u32_u24_e32 v1, 0x223, v0
	v_mov_b32_e32 v3, 0
	v_add_nc_u32_sdwa v5, s6, v1 dst_sel:DWORD dst_unused:UNUSED_PAD src0_sel:DWORD src1_sel:WORD_1
	v_mov_b32_e32 v1, 0
	v_mov_b32_e32 v6, v3
	v_mov_b32_e32 v2, 0
	s_waitcnt lgkmcnt(0)
	s_load_dwordx2 s[2:3], s[14:15], 0x0
	v_cmp_lt_u64_e64 s0, s[10:11], 2
	s_and_b32 vcc_lo, exec_lo, s0
	s_cbranch_vccnz .LBB0_8
; %bb.1:
	s_load_dwordx2 s[0:1], s[4:5], 0x10
	v_mov_b32_e32 v1, 0
	s_add_u32 s6, s14, 8
	v_mov_b32_e32 v2, 0
	s_addc_u32 s7, s15, 0
	s_mov_b64 s[18:19], 1
	s_waitcnt lgkmcnt(0)
	s_add_u32 s16, s0, 8
	s_addc_u32 s17, s1, 0
.LBB0_2:                                ; =>This Inner Loop Header: Depth=1
	s_load_dwordx2 s[20:21], s[16:17], 0x0
                                        ; implicit-def: $vgpr7_vgpr8
	s_mov_b32 s0, exec_lo
	s_waitcnt lgkmcnt(0)
	v_or_b32_e32 v4, s21, v6
	v_cmpx_ne_u64_e32 0, v[3:4]
	s_xor_b32 s1, exec_lo, s0
	s_cbranch_execz .LBB0_4
; %bb.3:                                ;   in Loop: Header=BB0_2 Depth=1
	v_cvt_f32_u32_e32 v4, s20
	v_cvt_f32_u32_e32 v7, s21
	s_sub_u32 s0, 0, s20
	s_subb_u32 s22, 0, s21
	v_fmac_f32_e32 v4, 0x4f800000, v7
	v_rcp_f32_e32 v4, v4
	v_mul_f32_e32 v4, 0x5f7ffffc, v4
	v_mul_f32_e32 v7, 0x2f800000, v4
	v_trunc_f32_e32 v7, v7
	v_fmac_f32_e32 v4, 0xcf800000, v7
	v_cvt_u32_f32_e32 v7, v7
	v_cvt_u32_f32_e32 v4, v4
	v_mul_lo_u32 v8, s0, v7
	v_mul_hi_u32 v9, s0, v4
	v_mul_lo_u32 v10, s22, v4
	v_add_nc_u32_e32 v8, v9, v8
	v_mul_lo_u32 v9, s0, v4
	v_add_nc_u32_e32 v8, v8, v10
	v_mul_hi_u32 v10, v4, v9
	v_mul_lo_u32 v11, v4, v8
	v_mul_hi_u32 v12, v4, v8
	v_mul_hi_u32 v13, v7, v9
	v_mul_lo_u32 v9, v7, v9
	v_mul_hi_u32 v14, v7, v8
	v_mul_lo_u32 v8, v7, v8
	v_add_co_u32 v10, vcc_lo, v10, v11
	v_add_co_ci_u32_e32 v11, vcc_lo, 0, v12, vcc_lo
	v_add_co_u32 v9, vcc_lo, v10, v9
	v_add_co_ci_u32_e32 v9, vcc_lo, v11, v13, vcc_lo
	v_add_co_ci_u32_e32 v10, vcc_lo, 0, v14, vcc_lo
	v_add_co_u32 v8, vcc_lo, v9, v8
	v_add_co_ci_u32_e32 v9, vcc_lo, 0, v10, vcc_lo
	v_add_co_u32 v4, vcc_lo, v4, v8
	v_add_co_ci_u32_e32 v7, vcc_lo, v7, v9, vcc_lo
	v_mul_hi_u32 v8, s0, v4
	v_mul_lo_u32 v10, s22, v4
	v_mul_lo_u32 v9, s0, v7
	v_add_nc_u32_e32 v8, v8, v9
	v_mul_lo_u32 v9, s0, v4
	v_add_nc_u32_e32 v8, v8, v10
	v_mul_hi_u32 v10, v4, v9
	v_mul_lo_u32 v11, v4, v8
	v_mul_hi_u32 v12, v4, v8
	v_mul_hi_u32 v13, v7, v9
	v_mul_lo_u32 v9, v7, v9
	v_mul_hi_u32 v14, v7, v8
	v_mul_lo_u32 v8, v7, v8
	v_add_co_u32 v10, vcc_lo, v10, v11
	v_add_co_ci_u32_e32 v11, vcc_lo, 0, v12, vcc_lo
	v_add_co_u32 v9, vcc_lo, v10, v9
	v_add_co_ci_u32_e32 v9, vcc_lo, v11, v13, vcc_lo
	v_add_co_ci_u32_e32 v10, vcc_lo, 0, v14, vcc_lo
	v_add_co_u32 v8, vcc_lo, v9, v8
	v_add_co_ci_u32_e32 v9, vcc_lo, 0, v10, vcc_lo
	v_add_co_u32 v4, vcc_lo, v4, v8
	v_add_co_ci_u32_e32 v11, vcc_lo, v7, v9, vcc_lo
	v_mul_hi_u32 v13, v5, v4
	v_mad_u64_u32 v[9:10], null, v6, v4, 0
	v_mad_u64_u32 v[7:8], null, v5, v11, 0
	;; [unrolled: 1-line block ×3, first 2 shown]
	v_add_co_u32 v4, vcc_lo, v13, v7
	v_add_co_ci_u32_e32 v7, vcc_lo, 0, v8, vcc_lo
	v_add_co_u32 v4, vcc_lo, v4, v9
	v_add_co_ci_u32_e32 v4, vcc_lo, v7, v10, vcc_lo
	v_add_co_ci_u32_e32 v7, vcc_lo, 0, v12, vcc_lo
	v_add_co_u32 v4, vcc_lo, v4, v11
	v_add_co_ci_u32_e32 v9, vcc_lo, 0, v7, vcc_lo
	v_mul_lo_u32 v10, s21, v4
	v_mad_u64_u32 v[7:8], null, s20, v4, 0
	v_mul_lo_u32 v11, s20, v9
	v_sub_co_u32 v7, vcc_lo, v5, v7
	v_add3_u32 v8, v8, v11, v10
	v_sub_nc_u32_e32 v10, v6, v8
	v_subrev_co_ci_u32_e64 v10, s0, s21, v10, vcc_lo
	v_add_co_u32 v11, s0, v4, 2
	v_add_co_ci_u32_e64 v12, s0, 0, v9, s0
	v_sub_co_u32 v13, s0, v7, s20
	v_sub_co_ci_u32_e32 v8, vcc_lo, v6, v8, vcc_lo
	v_subrev_co_ci_u32_e64 v10, s0, 0, v10, s0
	v_cmp_le_u32_e32 vcc_lo, s20, v13
	v_cmp_eq_u32_e64 s0, s21, v8
	v_cndmask_b32_e64 v13, 0, -1, vcc_lo
	v_cmp_le_u32_e32 vcc_lo, s21, v10
	v_cndmask_b32_e64 v14, 0, -1, vcc_lo
	v_cmp_le_u32_e32 vcc_lo, s20, v7
	;; [unrolled: 2-line block ×3, first 2 shown]
	v_cndmask_b32_e64 v15, 0, -1, vcc_lo
	v_cmp_eq_u32_e32 vcc_lo, s21, v10
	v_cndmask_b32_e64 v7, v15, v7, s0
	v_cndmask_b32_e32 v10, v14, v13, vcc_lo
	v_add_co_u32 v13, vcc_lo, v4, 1
	v_add_co_ci_u32_e32 v14, vcc_lo, 0, v9, vcc_lo
	v_cmp_ne_u32_e32 vcc_lo, 0, v10
	v_cndmask_b32_e32 v8, v14, v12, vcc_lo
	v_cndmask_b32_e32 v10, v13, v11, vcc_lo
	v_cmp_ne_u32_e32 vcc_lo, 0, v7
	v_cndmask_b32_e32 v8, v9, v8, vcc_lo
	v_cndmask_b32_e32 v7, v4, v10, vcc_lo
.LBB0_4:                                ;   in Loop: Header=BB0_2 Depth=1
	s_andn2_saveexec_b32 s0, s1
	s_cbranch_execz .LBB0_6
; %bb.5:                                ;   in Loop: Header=BB0_2 Depth=1
	v_cvt_f32_u32_e32 v4, s20
	s_sub_i32 s1, 0, s20
	v_rcp_iflag_f32_e32 v4, v4
	v_mul_f32_e32 v4, 0x4f7ffffe, v4
	v_cvt_u32_f32_e32 v4, v4
	v_mul_lo_u32 v7, s1, v4
	v_mul_hi_u32 v7, v4, v7
	v_add_nc_u32_e32 v4, v4, v7
	v_mul_hi_u32 v4, v5, v4
	v_mul_lo_u32 v7, v4, s20
	v_add_nc_u32_e32 v8, 1, v4
	v_sub_nc_u32_e32 v7, v5, v7
	v_subrev_nc_u32_e32 v9, s20, v7
	v_cmp_le_u32_e32 vcc_lo, s20, v7
	v_cndmask_b32_e32 v7, v7, v9, vcc_lo
	v_cndmask_b32_e32 v4, v4, v8, vcc_lo
	v_cmp_le_u32_e32 vcc_lo, s20, v7
	v_add_nc_u32_e32 v8, 1, v4
	v_cndmask_b32_e32 v7, v4, v8, vcc_lo
	v_mov_b32_e32 v8, v3
.LBB0_6:                                ;   in Loop: Header=BB0_2 Depth=1
	s_or_b32 exec_lo, exec_lo, s0
	s_load_dwordx2 s[0:1], s[6:7], 0x0
	v_mul_lo_u32 v4, v8, s20
	v_mul_lo_u32 v11, v7, s21
	v_mad_u64_u32 v[9:10], null, v7, s20, 0
	s_add_u32 s18, s18, 1
	s_addc_u32 s19, s19, 0
	s_add_u32 s6, s6, 8
	s_addc_u32 s7, s7, 0
	;; [unrolled: 2-line block ×3, first 2 shown]
	v_add3_u32 v4, v10, v11, v4
	v_sub_co_u32 v5, vcc_lo, v5, v9
	v_sub_co_ci_u32_e32 v4, vcc_lo, v6, v4, vcc_lo
	s_waitcnt lgkmcnt(0)
	v_mul_lo_u32 v6, s1, v5
	v_mul_lo_u32 v4, s0, v4
	v_mad_u64_u32 v[1:2], null, s0, v5, v[1:2]
	v_cmp_ge_u64_e64 s0, s[18:19], s[10:11]
	s_and_b32 vcc_lo, exec_lo, s0
	v_add3_u32 v2, v6, v2, v4
	s_cbranch_vccnz .LBB0_9
; %bb.7:                                ;   in Loop: Header=BB0_2 Depth=1
	v_mov_b32_e32 v5, v7
	v_mov_b32_e32 v6, v8
	s_branch .LBB0_2
.LBB0_8:
	v_mov_b32_e32 v8, v6
	v_mov_b32_e32 v7, v5
.LBB0_9:
	s_lshl_b64 s[0:1], s[10:11], 3
	v_mul_hi_u32 v3, 0x2222223, v0
	s_add_u32 s0, s14, s0
	s_addc_u32 s1, s15, s1
	s_load_dwordx2 s[4:5], s[4:5], 0x20
	s_load_dwordx2 s[0:1], s[0:1], 0x0
                                        ; implicit-def: $vgpr29
                                        ; implicit-def: $vgpr30
                                        ; implicit-def: $vgpr31
                                        ; implicit-def: $vgpr32
	v_mul_u32_u24_e32 v3, 0x78, v3
	v_sub_nc_u32_e32 v26, v0, v3
	v_add_nc_u32_e32 v20, 0x78, v26
	v_add_nc_u32_e32 v14, 0xf0, v26
	;; [unrolled: 1-line block ×3, first 2 shown]
	s_waitcnt lgkmcnt(0)
	v_cmp_gt_u64_e32 vcc_lo, s[4:5], v[7:8]
	v_mul_lo_u32 v3, s0, v8
	v_mul_lo_u32 v4, s1, v7
	v_mad_u64_u32 v[0:1], null, s0, v7, v[1:2]
	v_cmp_le_u64_e64 s0, s[4:5], v[7:8]
	v_add3_u32 v1, v4, v1, v3
	v_add_nc_u32_e32 v4, 0x1e0, v26
	s_and_saveexec_b32 s1, s0
	s_xor_b32 s0, exec_lo, s1
; %bb.10:
	v_add_nc_u32_e32 v29, 0x78, v26
	v_add_nc_u32_e32 v30, 0xf0, v26
	;; [unrolled: 1-line block ×4, first 2 shown]
; %bb.11:
	s_or_saveexec_b32 s1, s0
	v_lshlrev_b64 v[0:1], 2, v[0:1]
	v_add_nc_u32_e32 v21, 0x2d0, v26
	v_add_nc_u32_e32 v15, 0x5a0, v26
	;; [unrolled: 1-line block ×9, first 2 shown]
	v_or_b32_e32 v19, 0x780, v26
	v_add_nc_u32_e32 v12, 0xa50, v26
	v_add_nc_u32_e32 v23, 0xbb8, v26
	;; [unrolled: 1-line block ×10, first 2 shown]
                                        ; implicit-def: $vgpr36
                                        ; implicit-def: $vgpr40
                                        ; implicit-def: $vgpr50
                                        ; implicit-def: $vgpr52
                                        ; implicit-def: $vgpr39
                                        ; implicit-def: $vgpr38
                                        ; implicit-def: $vgpr51
                                        ; implicit-def: $vgpr48
                                        ; implicit-def: $vgpr42
                                        ; implicit-def: $vgpr41
                                        ; implicit-def: $vgpr53
                                        ; implicit-def: $vgpr49
                                        ; implicit-def: $vgpr44
                                        ; implicit-def: $vgpr34
                                        ; implicit-def: $vgpr54
                                        ; implicit-def: $vgpr45
                                        ; implicit-def: $vgpr35
                                        ; implicit-def: $vgpr3
                                        ; implicit-def: $vgpr33
                                        ; implicit-def: $vgpr2
                                        ; implicit-def: $vgpr70
                                        ; implicit-def: $vgpr62
                                        ; implicit-def: $vgpr87
                                        ; implicit-def: $vgpr79
                                        ; implicit-def: $vgpr72
                                        ; implicit-def: $vgpr63
                                        ; implicit-def: $vgpr88
                                        ; implicit-def: $vgpr75
                                        ; implicit-def: $vgpr73
                                        ; implicit-def: $vgpr46
                                        ; implicit-def: $vgpr89
                                        ; implicit-def: $vgpr57
                                        ; implicit-def: $vgpr74
                                        ; implicit-def: $vgpr47
                                        ; implicit-def: $vgpr90
                                        ; implicit-def: $vgpr59
                                        ; implicit-def: $vgpr66
                                        ; implicit-def: $vgpr43
                                        ; implicit-def: $vgpr58
                                        ; implicit-def: $vgpr37
                                        ; implicit-def: $vgpr76
                                        ; implicit-def: $vgpr69
                                        ; implicit-def: $vgpr82
                                        ; implicit-def: $vgpr71
                                        ; implicit-def: $vgpr77
                                        ; implicit-def: $vgpr60
                                        ; implicit-def: $vgpr83
                                        ; implicit-def: $vgpr65
                                        ; implicit-def: $vgpr78
                                        ; implicit-def: $vgpr61
                                        ; implicit-def: $vgpr84
                                        ; implicit-def: $vgpr67
                                        ; implicit-def: $vgpr80
                                        ; implicit-def: $vgpr64
                                        ; implicit-def: $vgpr85
                                        ; implicit-def: $vgpr68
                                        ; implicit-def: $vgpr81
                                        ; implicit-def: $vgpr56
                                        ; implicit-def: $vgpr91
                                        ; implicit-def: $vgpr55
	s_xor_b32 exec_lo, exec_lo, s1
	s_cbranch_execz .LBB0_13
; %bb.12:
	v_mad_u64_u32 v[2:3], null, s2, v26, 0
	v_mad_u64_u32 v[31:32], null, s2, v9, 0
	;; [unrolled: 1-line block ×3, first 2 shown]
	v_add_nc_u32_e32 v41, 0x438, v26
	v_mad_u64_u32 v[43:44], null, s2, v6, 0
	v_mad_u64_u32 v[29:30], null, s3, v26, v[3:4]
	v_mov_b32_e32 v3, v32
	v_mov_b32_e32 v32, v34
	v_mad_u64_u32 v[35:36], null, s2, v41, 0
	v_mad_u64_u32 v[45:46], null, s2, v17, 0
	;; [unrolled: 1-line block ×5, first 2 shown]
	v_mov_b32_e32 v3, v29
	v_add_co_u32 v29, s0, s12, v0
	v_mov_b32_e32 v32, v37
	v_mad_u64_u32 v[36:37], null, s3, v41, v[36:37]
	v_mov_b32_e32 v37, v40
	v_mad_u64_u32 v[41:42], null, s2, v24, 0
	v_mov_b32_e32 v34, v38
	v_lshlrev_b64 v[2:3], 2, v[2:3]
	v_mad_u64_u32 v[37:38], null, s3, v15, v[37:38]
	v_add_co_ci_u32_e64 v30, s0, s13, v1, s0
	v_lshlrev_b64 v[31:32], 2, v[31:32]
	v_mov_b32_e32 v38, v42
	v_add_co_u32 v2, s0, v29, v2
	v_lshlrev_b64 v[33:34], 2, v[33:34]
	v_mov_b32_e32 v40, v37
	v_add_co_ci_u32_e64 v3, s0, v30, v3, s0
	v_add_co_u32 v31, s0, v29, v31
	v_lshlrev_b64 v[35:36], 2, v[35:36]
	v_mad_u64_u32 v[37:38], null, s3, v24, v[38:39]
	v_add_co_ci_u32_e64 v32, s0, v30, v32, s0
	v_lshlrev_b64 v[39:40], 2, v[39:40]
	v_add_co_u32 v33, s0, v29, v33
	v_mov_b32_e32 v38, v44
	v_add_co_ci_u32_e64 v34, s0, v30, v34, s0
	v_add_co_u32 v35, s0, v29, v35
	v_add_co_ci_u32_e64 v36, s0, v30, v36, s0
	v_mov_b32_e32 v42, v37
	v_mad_u64_u32 v[37:38], null, s3, v6, v[38:39]
	v_mov_b32_e32 v38, v46
	v_add_co_u32 v39, s0, v29, v39
	v_add_nc_u32_e32 v51, 0xb40, v26
	v_lshlrev_b64 v[41:42], 2, v[41:42]
	v_add_co_ci_u32_e64 v40, s0, v30, v40, s0
	v_mad_u64_u32 v[46:47], null, s3, v17, v[38:39]
	v_mad_u64_u32 v[47:48], null, s2, v51, 0
	v_mov_b32_e32 v44, v37
	v_add_co_u32 v37, s0, v29, v41
	v_add_co_ci_u32_e64 v38, s0, v30, v42, s0
	v_lshlrev_b64 v[41:42], 2, v[43:44]
	v_lshlrev_b64 v[44:45], 2, v[45:46]
	v_mov_b32_e32 v43, v48
	v_mad_u64_u32 v[49:50], null, s2, v11, 0
	v_mad_u64_u32 v[57:58], null, s2, v4, 0
	;; [unrolled: 1-line block ×3, first 2 shown]
	v_add_co_u32 v41, s0, v29, v41
	v_mad_u64_u32 v[52:53], null, s2, v20, 0
	v_add_co_ci_u32_e64 v42, s0, v30, v42, s0
	v_mov_b32_e32 v43, v50
	v_add_co_u32 v44, s0, v29, v44
	v_mov_b32_e32 v48, v51
	v_add_co_ci_u32_e64 v45, s0, v30, v45, s0
	v_mad_u64_u32 v[50:51], null, s3, v11, v[43:44]
	v_mov_b32_e32 v43, v53
	s_clause 0x7
	global_load_dword v55, v[2:3], off
	global_load_dword v56, v[31:32], off
	;; [unrolled: 1-line block ×8, first 2 shown]
	v_mad_u64_u32 v[33:34], null, s2, v16, 0
	v_mad_u64_u32 v[37:38], null, s2, v27, 0
	;; [unrolled: 1-line block ×3, first 2 shown]
	v_mov_b32_e32 v32, v58
	v_mad_u64_u32 v[41:42], null, s2, v8, 0
	v_lshlrev_b64 v[2:3], 2, v[47:48]
	v_lshlrev_b64 v[35:36], 2, v[49:50]
	v_mad_u64_u32 v[45:46], null, s2, v19, 0
	v_mov_b32_e32 v53, v31
	v_mad_u64_u32 v[31:32], null, s3, v4, v[32:33]
	v_mov_b32_e32 v32, v34
	v_add_co_u32 v2, s0, v29, v2
	v_lshlrev_b64 v[39:40], 2, v[52:53]
	v_add_co_ci_u32_e64 v3, s0, v30, v3, s0
	v_mov_b32_e32 v58, v31
	v_mad_u64_u32 v[31:32], null, s3, v16, v[32:33]
	v_mov_b32_e32 v32, v38
	v_add_co_u32 v35, s0, v29, v35
	v_lshlrev_b64 v[43:44], 2, v[57:58]
	v_add_co_ci_u32_e64 v36, s0, v30, v36, s0
	;; [unrolled: 6-line block ×3, first 2 shown]
	v_mov_b32_e32 v38, v31
	v_add_nc_u32_e32 v54, 0x8e8, v26
	v_add_co_u32 v43, s0, v29, v43
	v_mad_u64_u32 v[31:32], null, s3, v8, v[32:33]
	v_lshlrev_b64 v[37:38], 2, v[37:38]
	v_add_co_ci_u32_e64 v44, s0, v30, v44, s0
	v_mov_b32_e32 v32, v46
	v_add_co_u32 v33, s0, v29, v33
	v_mov_b32_e32 v42, v31
	v_mad_u64_u32 v[48:49], null, s2, v54, 0
	v_add_co_ci_u32_e64 v34, s0, v30, v34, s0
	v_add_co_u32 v31, s0, v29, v37
	v_mad_u64_u32 v[46:47], null, s3, v19, v[32:33]
	v_add_co_ci_u32_e64 v32, s0, v30, v38, s0
	v_lshlrev_b64 v[37:38], 2, v[41:42]
	v_mov_b32_e32 v41, v49
	v_mad_u64_u32 v[50:51], null, s2, v12, 0
	v_mad_u64_u32 v[62:63], null, s2, v23, 0
	v_add_co_u32 v52, s0, v29, v37
	v_add_co_ci_u32_e64 v53, s0, v30, v38, s0
	v_lshlrev_b64 v[37:38], 2, v[45:46]
	v_mad_u64_u32 v[41:42], null, s3, v54, v[41:42]
	v_mov_b32_e32 v42, v51
	v_mad_u64_u32 v[72:73], null, s2, v5, 0
	v_add_co_u32 v45, s0, v29, v37
	v_add_co_ci_u32_e64 v46, s0, v30, v38, s0
	v_mov_b32_e32 v49, v41
	v_mad_u64_u32 v[41:42], null, s3, v12, v[42:43]
	s_clause 0x7
	global_load_dword v71, v[2:3], off
	global_load_dword v69, v[35:36], off
	;; [unrolled: 1-line block ×8, first 2 shown]
	v_mov_b32_e32 v38, v63
	v_mad_u64_u32 v[33:34], null, s2, v14, 0
	v_lshlrev_b64 v[2:3], 2, v[48:49]
	v_mad_u64_u32 v[44:45], null, s2, v10, 0
	v_mad_u64_u32 v[31:32], null, s3, v23, v[38:39]
	v_mov_b32_e32 v32, v73
	v_mad_u64_u32 v[38:39], null, s2, v28, 0
	v_mov_b32_e32 v51, v41
	v_add_co_u32 v2, s0, v29, v2
	v_mov_b32_e32 v63, v31
	v_mad_u64_u32 v[31:32], null, s3, v5, v[32:33]
	v_mov_b32_e32 v32, v34
	v_lshlrev_b64 v[35:36], 2, v[50:51]
	v_lshlrev_b64 v[40:41], 2, v[62:63]
	v_add_co_ci_u32_e64 v3, s0, v30, v3, s0
	v_mad_u64_u32 v[50:51], null, s2, v22, 0
	v_mov_b32_e32 v73, v31
	v_mad_u64_u32 v[31:32], null, s3, v14, v[32:33]
	v_mov_b32_e32 v32, v39
	v_add_co_u32 v35, s0, v29, v35
	v_lshlrev_b64 v[48:49], 2, v[72:73]
	v_add_co_ci_u32_e64 v36, s0, v30, v36, s0
	v_mov_b32_e32 v34, v31
	v_mad_u64_u32 v[31:32], null, s3, v28, v[32:33]
	v_add_co_u32 v40, s0, v29, v40
	v_lshlrev_b64 v[33:34], 2, v[33:34]
	v_mov_b32_e32 v32, v45
	v_add_co_ci_u32_e64 v41, s0, v30, v41, s0
	v_add_co_u32 v48, s0, v29, v48
	v_add_co_ci_u32_e64 v49, s0, v30, v49, s0
	v_mov_b32_e32 v39, v31
	v_mad_u64_u32 v[31:32], null, s3, v10, v[32:33]
	v_mov_b32_e32 v32, v51
	v_add_co_u32 v33, s0, v29, v33
	v_add_nc_u32_e32 v54, 0x690, v26
	v_lshlrev_b64 v[38:39], 2, v[38:39]
	v_add_co_ci_u32_e64 v34, s0, v30, v34, s0
	v_mad_u64_u32 v[51:52], null, s3, v22, v[32:33]
	v_mad_u64_u32 v[52:53], null, s2, v54, 0
	v_mov_b32_e32 v45, v31
	v_add_co_u32 v31, s0, v29, v38
	v_mad_u64_u32 v[72:73], null, s2, v13, 0
	v_add_co_ci_u32_e64 v32, s0, v30, v39, s0
	v_lshlrev_b64 v[38:39], 2, v[44:45]
	v_mov_b32_e32 v42, v53
	v_lshlrev_b64 v[44:45], 2, v[50:51]
	v_mad_u64_u32 v[76:77], null, s2, v25, 0
	v_add_co_u32 v38, s0, v29, v38
	v_add_co_ci_u32_e64 v39, s0, v30, v39, s0
	s_waitcnt vmcnt(15)
	v_lshrrev_b32_e32 v91, 16, v55
	s_waitcnt vmcnt(14)
	v_lshrrev_b32_e32 v81, 16, v56
	;; [unrolled: 2-line block ×9, first 2 shown]
	s_waitcnt vmcnt(4)
	v_mad_u64_u32 v[50:51], null, s3, v54, v[42:43]
	v_mov_b32_e32 v42, v73
	v_add_co_u32 v73, s0, v29, v44
	v_add_co_ci_u32_e64 v74, s0, v30, v45, s0
	v_mad_u64_u32 v[44:45], null, s3, v13, v[42:43]
	s_clause 0x7
	global_load_dword v75, v[2:3], off
	global_load_dword v63, v[35:36], off
	;; [unrolled: 1-line block ×8, first 2 shown]
	v_mov_b32_e32 v53, v50
	v_mad_u64_u32 v[50:51], null, s2, v7, 0
	v_mov_b32_e32 v42, v77
	v_mad_u64_u32 v[38:39], null, s2, v18, 0
	v_mov_b32_e32 v73, v44
	v_add_nc_u32_e32 v44, 0xd98, v26
	v_mad_u64_u32 v[35:36], null, s3, v25, v[42:43]
	v_mov_b32_e32 v33, v51
	v_lshlrev_b64 v[31:32], 2, v[52:53]
	v_lshlrev_b64 v[48:49], 2, v[72:73]
	v_lshrrev_b32_e32 v66, 16, v43
	s_waitcnt vmcnt(11)
	v_lshrrev_b32_e32 v90, 16, v59
	s_waitcnt vmcnt(10)
	v_lshrrev_b32_e32 v74, 16, v47
	v_mov_b32_e32 v77, v35
	v_add_co_u32 v31, s0, v29, v31
	v_add_co_ci_u32_e64 v32, s0, v30, v32, s0
	v_add_co_u32 v52, s0, v29, v48
	v_add_co_ci_u32_e64 v53, s0, v30, v49, s0
	v_lshlrev_b64 v[48:49], 2, v[76:77]
	v_lshrrev_b32_e32 v77, 16, v60
	v_lshrrev_b32_e32 v76, 16, v69
	s_waitcnt vmcnt(9)
	v_lshrrev_b32_e32 v89, 16, v57
	s_waitcnt vmcnt(7)
	;; [unrolled: 2-line block ×6, first 2 shown]
	v_mad_u64_u32 v[40:41], null, s3, v7, v[33:34]
	v_mad_u64_u32 v[41:42], null, s2, v44, 0
	v_mov_b32_e32 v33, v39
	v_mov_b32_e32 v51, v40
	v_mad_u64_u32 v[35:36], null, s3, v18, v[33:34]
	v_mov_b32_e32 v33, v42
	v_lshlrev_b64 v[50:51], 2, v[50:51]
	v_mad_u64_u32 v[72:73], null, s3, v44, v[33:34]
	v_mov_b32_e32 v39, v35
	v_add_co_u32 v35, s0, v29, v48
	v_add_co_ci_u32_e64 v36, s0, v30, v49, s0
	v_lshlrev_b64 v[38:39], 2, v[38:39]
	v_mov_b32_e32 v42, v72
	v_add_co_u32 v50, s0, v29, v50
	v_add_co_ci_u32_e64 v51, s0, v30, v51, s0
	v_lshlrev_b64 v[40:41], 2, v[41:42]
	v_add_co_u32 v72, s0, v29, v38
	v_add_co_ci_u32_e64 v73, s0, v30, v39, s0
	v_lshrrev_b32_e32 v33, 16, v2
	v_add_co_u32 v29, s0, v29, v40
	v_add_co_ci_u32_e64 v30, s0, v30, v41, s0
	s_clause 0x5
	global_load_dword v49, v[31:32], off
	global_load_dword v41, v[52:53], off
	;; [unrolled: 1-line block ×6, first 2 shown]
	v_lshrrev_b32_e32 v73, 16, v46
	v_lshrrev_b32_e32 v72, 16, v63
	;; [unrolled: 1-line block ×4, first 2 shown]
	v_mov_b32_e32 v32, v4
	v_mov_b32_e32 v31, v9
	v_mov_b32_e32 v30, v14
	v_mov_b32_e32 v29, v20
	s_waitcnt vmcnt(5)
	v_lshrrev_b32_e32 v53, 16, v49
	s_waitcnt vmcnt(4)
	v_lshrrev_b32_e32 v42, 16, v41
	s_waitcnt vmcnt(3)
	v_lshrrev_b32_e32 v51, 16, v48
	s_waitcnt vmcnt(2)
	v_lshrrev_b32_e32 v39, 16, v38
	s_waitcnt vmcnt(1)
	v_lshrrev_b32_e32 v50, 16, v52
	s_waitcnt vmcnt(0)
	v_lshrrev_b32_e32 v36, 16, v40
.LBB0_13:
	s_or_b32 exec_lo, exec_lo, s1
	v_add_f16_e32 v86, v65, v67
	v_add_f16_e32 v92, v68, v55
	v_sub_f16_e32 v93, v85, v82
	v_add_f16_e32 v97, v71, v68
	v_sub_f16_e32 v94, v84, v83
	v_fma_f16 v86, -0.5, v86, v55
	v_add_f16_e32 v92, v67, v92
	v_add_f16_e32 v100, v85, v91
	v_fmac_f16_e32 v55, -0.5, v97
	v_sub_f16_e32 v95, v68, v67
	v_fmamk_f16 v99, v93, 0xbb9c, v86
	v_fmac_f16_e32 v86, 0x3b9c, v93
	v_sub_f16_e32 v96, v71, v65
	v_add_f16_e32 v92, v65, v92
	v_fmamk_f16 v97, v94, 0x3b9c, v55
	v_fmac_f16_e32 v99, 0xb8b4, v94
	v_fmac_f16_e32 v86, 0x38b4, v94
	;; [unrolled: 1-line block ×3, first 2 shown]
	v_add_f16_e32 v94, v84, v100
	v_sub_f16_e32 v98, v67, v68
	v_add_f16_e32 v95, v96, v95
	v_sub_f16_e32 v96, v65, v71
	v_add_f16_e32 v92, v71, v92
	v_add_f16_e32 v101, v83, v84
	v_sub_f16_e32 v68, v68, v71
	v_add_f16_e32 v71, v83, v94
	v_add_f16_e32 v94, v82, v85
	v_fmac_f16_e32 v99, 0x34f2, v95
	v_add_f16_e32 v96, v96, v98
	v_fma_f16 v98, -0.5, v101, v91
	v_fmac_f16_e32 v86, 0x34f2, v95
	v_sub_f16_e32 v65, v67, v65
	v_sub_f16_e32 v67, v85, v84
	;; [unrolled: 1-line block ×3, first 2 shown]
	v_fmac_f16_e32 v91, -0.5, v94
	v_fmac_f16_e32 v97, 0xb8b4, v93
	v_fmac_f16_e32 v55, 0x38b4, v93
	v_fmamk_f16 v93, v68, 0x3b9c, v98
	v_add_f16_e32 v94, v82, v71
	v_add_f16_e32 v67, v95, v67
	v_fmac_f16_e32 v98, 0xbb9c, v68
	v_fmamk_f16 v95, v65, 0xbb9c, v91
	v_sub_f16_e32 v71, v84, v85
	v_sub_f16_e32 v82, v83, v82
	v_fmac_f16_e32 v91, 0x3b9c, v65
	v_fmac_f16_e32 v93, 0x38b4, v65
	;; [unrolled: 1-line block ×4, first 2 shown]
	v_add_f16_e32 v71, v82, v71
	v_add_f16_e32 v82, v60, v61
	v_fmac_f16_e32 v91, 0xb8b4, v68
	v_add_f16_e32 v68, v69, v64
	v_fmac_f16_e32 v93, 0x34f2, v67
	;; [unrolled: 2-line block ×3, first 2 shown]
	v_fmac_f16_e32 v95, 0x34f2, v71
	v_fma_f16 v67, -0.5, v82, v56
	v_sub_f16_e32 v82, v80, v76
	v_fmac_f16_e32 v91, 0x34f2, v71
	v_sub_f16_e32 v71, v78, v77
	v_fmac_f16_e32 v56, -0.5, v68
	v_add_f16_e32 v65, v61, v83
	v_fmamk_f16 v68, v82, 0xbb9c, v67
	v_fmac_f16_e32 v67, 0x3b9c, v82
	v_fmac_f16_e32 v97, 0x34f2, v96
	v_fmamk_f16 v85, v71, 0x3b9c, v56
	v_fmac_f16_e32 v56, 0xbb9c, v71
	v_fmac_f16_e32 v55, 0x34f2, v96
	v_add_f16_e32 v65, v60, v65
	v_sub_f16_e32 v83, v64, v61
	v_sub_f16_e32 v84, v69, v60
	;; [unrolled: 1-line block ×4, first 2 shown]
	v_fmac_f16_e32 v68, 0xb8b4, v71
	v_fmac_f16_e32 v67, 0x38b4, v71
	;; [unrolled: 1-line block ×3, first 2 shown]
	v_add_f16_e32 v71, v77, v78
	v_fmac_f16_e32 v56, 0x38b4, v82
	v_add_f16_e32 v82, v76, v80
	v_add_f16_e32 v65, v69, v65
	;; [unrolled: 1-line block ×4, first 2 shown]
	v_fma_f16 v71, -0.5, v71, v81
	v_sub_f16_e32 v64, v64, v69
	v_add_f16_e32 v69, v80, v81
	v_sub_f16_e32 v60, v61, v60
	v_fmac_f16_e32 v81, -0.5, v82
	v_fmac_f16_e32 v68, 0x34f2, v83
	v_fmac_f16_e32 v67, 0x34f2, v83
	;; [unrolled: 1-line block ×4, first 2 shown]
	v_fmamk_f16 v61, v64, 0x3b9c, v71
	v_sub_f16_e32 v82, v80, v78
	v_sub_f16_e32 v83, v76, v77
	v_fmamk_f16 v84, v60, 0xbb9c, v81
	v_sub_f16_e32 v80, v78, v80
	v_sub_f16_e32 v96, v77, v76
	v_fmac_f16_e32 v81, 0x3b9c, v60
	v_fmac_f16_e32 v61, 0x38b4, v60
	v_add_f16_e32 v82, v83, v82
	v_fmac_f16_e32 v84, 0x38b4, v64
	v_add_f16_e32 v80, v96, v80
	v_fmac_f16_e32 v81, 0xb8b4, v64
	v_fmac_f16_e32 v71, 0xbb9c, v64
	v_add_f16_e32 v64, v78, v69
	v_fmac_f16_e32 v61, 0x34f2, v82
	v_fmac_f16_e32 v84, 0x34f2, v80
	;; [unrolled: 1-line block ×4, first 2 shown]
	v_add_f16_e32 v60, v77, v64
	v_mul_f16_e32 v64, 0xb8b4, v61
	v_mul_f16_e32 v96, 0xbb9c, v84
	;; [unrolled: 1-line block ×4, first 2 shown]
	v_fmac_f16_e32 v71, 0x34f2, v82
	v_fmac_f16_e32 v64, 0x3a79, v68
	;; [unrolled: 1-line block ×3, first 2 shown]
	v_mul_f16_e32 v103, 0x3b9c, v85
	v_fmac_f16_e32 v102, 0x3a79, v61
	v_add_f16_e32 v61, v75, v57
	v_add_f16_e32 v60, v76, v60
	v_fmac_f16_e32 v100, 0xb4f2, v56
	v_mul_f16_e32 v101, 0xb8b4, v71
	v_add_f16_e32 v76, v65, v92
	v_add_f16_e32 v77, v99, v64
	;; [unrolled: 1-line block ×3, first 2 shown]
	v_mul_f16_e32 v104, 0xb4f2, v81
	v_mul_f16_e32 v105, 0xba79, v71
	v_fmac_f16_e32 v103, 0x34f2, v84
	v_sub_f16_e32 v82, v92, v65
	v_sub_f16_e32 v83, v99, v64
	;; [unrolled: 1-line block ×3, first 2 shown]
	v_add_f16_e32 v64, v59, v37
	v_fma_f16 v92, -0.5, v61, v37
	v_sub_f16_e32 v96, v90, v87
	v_add_f16_e32 v99, v79, v59
	v_add_f16_e32 v80, v55, v100
	v_fmac_f16_e32 v101, 0xba79, v67
	v_fmac_f16_e32 v104, 0x3b9c, v56
	v_fmac_f16_e32 v105, 0x38b4, v67
	v_add_f16_e32 v67, v60, v94
	v_add_f16_e32 v68, v93, v102
	;; [unrolled: 1-line block ×3, first 2 shown]
	v_sub_f16_e32 v84, v55, v100
	v_sub_f16_e32 v55, v94, v60
	;; [unrolled: 1-line block ×4, first 2 shown]
	v_add_f16_e32 v65, v57, v64
	v_fmamk_f16 v93, v96, 0xbb9c, v92
	v_sub_f16_e32 v94, v89, v88
	v_sub_f16_e32 v95, v59, v57
	;; [unrolled: 1-line block ×3, first 2 shown]
	v_fmac_f16_e32 v37, -0.5, v99
	v_fmac_f16_e32 v92, 0x3b9c, v96
	v_add_f16_e32 v100, v90, v58
	v_add_f16_e32 v81, v86, v101
	;; [unrolled: 1-line block ×4, first 2 shown]
	v_sub_f16_e32 v86, v86, v101
	v_sub_f16_e32 v64, v91, v104
	v_add_f16_e32 v91, v75, v65
	v_fmac_f16_e32 v93, 0xb8b4, v94
	v_add_f16_e32 v95, v97, v95
	v_sub_f16_e32 v65, v98, v105
	v_fmamk_f16 v97, v94, 0x3b9c, v37
	v_sub_f16_e32 v98, v57, v59
	v_sub_f16_e32 v99, v75, v79
	v_fmac_f16_e32 v92, 0x38b4, v94
	v_add_f16_e32 v101, v88, v89
	v_fmac_f16_e32 v37, 0xbb9c, v94
	v_add_f16_e32 v94, v89, v100
	v_add_f16_e32 v91, v79, v91
	v_fmac_f16_e32 v93, 0x34f2, v95
	v_add_f16_e32 v98, v99, v98
	v_fma_f16 v99, -0.5, v101, v58
	v_sub_f16_e32 v59, v59, v79
	v_fmac_f16_e32 v92, 0x34f2, v95
	v_add_f16_e32 v79, v88, v94
	v_add_f16_e32 v95, v87, v90
	v_fmac_f16_e32 v97, 0xb8b4, v96
	v_fmac_f16_e32 v37, 0x38b4, v96
	v_fmamk_f16 v94, v59, 0x3b9c, v99
	v_sub_f16_e32 v57, v57, v75
	v_sub_f16_e32 v75, v90, v89
	;; [unrolled: 1-line block ×3, first 2 shown]
	v_fmac_f16_e32 v58, -0.5, v95
	v_add_f16_e32 v79, v87, v79
	v_fmac_f16_e32 v99, 0xbb9c, v59
	v_sub_f16_e32 v87, v88, v87
	v_add_f16_e32 v88, v47, v43
	v_fmac_f16_e32 v94, 0x38b4, v57
	v_add_f16_e32 v75, v96, v75
	v_fmamk_f16 v95, v57, 0xbb9c, v58
	v_sub_f16_e32 v89, v89, v90
	v_fmac_f16_e32 v99, 0xb8b4, v57
	v_fmac_f16_e32 v58, 0x3b9c, v57
	v_add_f16_e32 v57, v46, v88
	v_add_f16_e32 v88, v63, v46
	v_fmac_f16_e32 v94, 0x34f2, v75
	v_fmac_f16_e32 v95, 0x38b4, v59
	v_add_f16_e32 v87, v87, v89
	v_fmac_f16_e32 v99, 0x34f2, v75
	v_fmac_f16_e32 v58, 0xb8b4, v59
	v_fma_f16 v59, -0.5, v88, v43
	v_add_f16_e32 v75, v62, v47
	v_sub_f16_e32 v88, v74, v70
	v_fmac_f16_e32 v95, 0x34f2, v87
	v_fmac_f16_e32 v58, 0x34f2, v87
	v_sub_f16_e32 v87, v73, v72
	v_fmac_f16_e32 v43, -0.5, v75
	v_fmamk_f16 v75, v88, 0xbb9c, v59
	v_fmac_f16_e32 v59, 0x3b9c, v88
	v_sub_f16_e32 v89, v47, v46
	v_sub_f16_e32 v90, v62, v63
	v_fmamk_f16 v96, v87, 0x3b9c, v43
	v_fmac_f16_e32 v75, 0xb8b4, v87
	v_fmac_f16_e32 v59, 0x38b4, v87
	;; [unrolled: 1-line block ×3, first 2 shown]
	v_add_f16_e32 v87, v72, v73
	v_fmac_f16_e32 v97, 0x34f2, v98
	v_fmac_f16_e32 v37, 0x34f2, v98
	v_add_f16_e32 v57, v63, v57
	v_sub_f16_e32 v98, v46, v47
	v_sub_f16_e32 v100, v63, v62
	v_add_f16_e32 v89, v90, v89
	v_fmac_f16_e32 v96, 0xb8b4, v88
	v_fmac_f16_e32 v43, 0x38b4, v88
	v_add_f16_e32 v88, v70, v74
	v_fma_f16 v87, -0.5, v87, v66
	v_sub_f16_e32 v47, v47, v62
	v_add_f16_e32 v57, v62, v57
	v_add_f16_e32 v90, v100, v98
	v_fmac_f16_e32 v75, 0x34f2, v89
	v_fmac_f16_e32 v59, 0x34f2, v89
	v_add_f16_e32 v62, v74, v66
	v_sub_f16_e32 v46, v46, v63
	v_fmac_f16_e32 v66, -0.5, v88
	v_fmamk_f16 v63, v47, 0x3b9c, v87
	v_sub_f16_e32 v88, v74, v73
	v_sub_f16_e32 v89, v70, v72
	v_fmac_f16_e32 v96, 0x34f2, v90
	v_fmac_f16_e32 v43, 0x34f2, v90
	v_fmamk_f16 v90, v46, 0xbb9c, v66
	v_sub_f16_e32 v74, v73, v74
	v_sub_f16_e32 v98, v72, v70
	v_fmac_f16_e32 v66, 0x3b9c, v46
	v_fmac_f16_e32 v63, 0x38b4, v46
	v_add_f16_e32 v88, v89, v88
	v_fmac_f16_e32 v90, 0x38b4, v47
	v_add_f16_e32 v74, v98, v74
	v_fmac_f16_e32 v66, 0xb8b4, v47
	v_fmac_f16_e32 v87, 0xbb9c, v47
	v_add_f16_e32 v47, v73, v62
	v_fmac_f16_e32 v63, 0x34f2, v88
	v_fmac_f16_e32 v90, 0x34f2, v74
	;; [unrolled: 1-line block ×4, first 2 shown]
	v_add_f16_e32 v46, v72, v47
	v_mul_f16_e32 v47, 0xb8b4, v63
	v_mul_f16_e32 v62, 0xbb9c, v90
	;; [unrolled: 1-line block ×3, first 2 shown]
	v_fmac_f16_e32 v87, 0x34f2, v88
	v_add_f16_e32 v46, v70, v46
	v_fmac_f16_e32 v47, 0x3a79, v75
	v_mul_f16_e32 v75, 0x38b4, v75
	v_fmac_f16_e32 v72, 0xb4f2, v43
	v_mul_f16_e32 v70, 0xb8b4, v87
	v_mul_f16_e32 v66, 0xb4f2, v66
	v_fmac_f16_e32 v62, 0x34f2, v96
	v_fmac_f16_e32 v75, 0x3a79, v63
	v_add_f16_e32 v73, v57, v91
	v_add_f16_e32 v89, v37, v72
	v_fmac_f16_e32 v70, 0xba79, v59
	v_mul_f16_e32 v96, 0x3b9c, v96
	v_mul_f16_e32 v87, 0xba79, v87
	v_fmac_f16_e32 v66, 0x3b9c, v43
	v_add_f16_e32 v100, v94, v75
	v_sub_f16_e32 v43, v91, v57
	v_add_f16_e32 v57, v48, v49
	v_sub_f16_e32 v37, v37, v72
	;; [unrolled: 2-line block ×3, first 2 shown]
	v_add_f16_e32 v94, v52, v45
	v_add_f16_e32 v74, v93, v47
	;; [unrolled: 1-line block ×4, first 2 shown]
	v_fmac_f16_e32 v96, 0x34f2, v90
	v_fmac_f16_e32 v87, 0x38b4, v59
	v_sub_f16_e32 v47, v93, v47
	v_sub_f16_e32 v59, v97, v62
	;; [unrolled: 1-line block ×3, first 2 shown]
	v_fma_f16 v57, -0.5, v57, v2
	v_sub_f16_e32 v70, v54, v50
	v_add_f16_e32 v63, v49, v63
	v_sub_f16_e32 v91, v53, v51
	v_sub_f16_e32 v92, v45, v49
	;; [unrolled: 1-line block ×3, first 2 shown]
	v_fmac_f16_e32 v2, -0.5, v94
	v_add_f16_e32 v90, v46, v79
	v_add_f16_e32 v101, v95, v96
	;; [unrolled: 1-line block ×3, first 2 shown]
	v_sub_f16_e32 v46, v79, v46
	v_sub_f16_e32 v75, v95, v96
	v_fmamk_f16 v79, v70, 0xbb9c, v57
	v_sub_f16_e32 v66, v58, v66
	v_add_f16_e32 v58, v48, v63
	v_add_f16_e32 v63, v93, v92
	v_fmac_f16_e32 v57, 0x3b9c, v70
	v_fmamk_f16 v92, v91, 0x3b9c, v2
	v_sub_f16_e32 v93, v49, v45
	v_sub_f16_e32 v94, v48, v52
	v_add_f16_e32 v95, v54, v33
	v_add_f16_e32 v96, v51, v53
	v_fmac_f16_e32 v2, 0xbb9c, v91
	v_fmac_f16_e32 v79, 0xb8b4, v91
	;; [unrolled: 1-line block ×4, first 2 shown]
	v_add_f16_e32 v93, v94, v93
	v_add_f16_e32 v91, v53, v95
	v_fma_f16 v94, -0.5, v96, v33
	v_sub_f16_e32 v45, v45, v52
	v_fmac_f16_e32 v2, 0x38b4, v70
	v_add_f16_e32 v70, v50, v54
	v_add_f16_e32 v58, v52, v58
	v_fmac_f16_e32 v79, 0x34f2, v63
	v_fmac_f16_e32 v57, 0x34f2, v63
	v_add_f16_e32 v52, v51, v91
	v_fmamk_f16 v63, v45, 0x3b9c, v94
	v_sub_f16_e32 v48, v49, v48
	v_sub_f16_e32 v49, v54, v53
	;; [unrolled: 1-line block ×3, first 2 shown]
	v_fmac_f16_e32 v33, -0.5, v70
	v_fmac_f16_e32 v94, 0xbb9c, v45
	v_add_f16_e32 v52, v50, v52
	v_fmac_f16_e32 v63, 0x38b4, v48
	v_add_f16_e32 v49, v91, v49
	v_fmamk_f16 v70, v48, 0xbb9c, v33
	v_sub_f16_e32 v53, v53, v54
	v_sub_f16_e32 v50, v51, v50
	v_add_f16_e32 v51, v34, v3
	v_fmac_f16_e32 v94, 0xb8b4, v48
	v_fmac_f16_e32 v33, 0x3b9c, v48
	;; [unrolled: 1-line block ×4, first 2 shown]
	v_add_f16_e32 v50, v50, v53
	v_add_f16_e32 v48, v41, v51
	v_add_f16_e32 v51, v38, v41
	v_fmac_f16_e32 v94, 0x34f2, v49
	v_fmac_f16_e32 v33, 0xb8b4, v45
	v_add_f16_e32 v49, v40, v34
	v_fmac_f16_e32 v70, 0x34f2, v50
	v_add_f16_e32 v45, v38, v48
	v_fma_f16 v48, -0.5, v51, v3
	v_sub_f16_e32 v51, v44, v36
	v_fmac_f16_e32 v33, 0x34f2, v50
	v_sub_f16_e32 v50, v42, v39
	v_fmac_f16_e32 v3, -0.5, v49
	v_fmac_f16_e32 v92, 0x34f2, v93
	v_fmamk_f16 v49, v51, 0xbb9c, v48
	v_fmac_f16_e32 v48, 0x3b9c, v51
	v_fmac_f16_e32 v2, 0x34f2, v93
	v_fmamk_f16 v91, v50, 0x3b9c, v3
	v_fmac_f16_e32 v3, 0xbb9c, v50
	v_sub_f16_e32 v53, v34, v41
	v_sub_f16_e32 v54, v40, v38
	;; [unrolled: 1-line block ×4, first 2 shown]
	v_fmac_f16_e32 v49, 0xb8b4, v50
	v_fmac_f16_e32 v48, 0x38b4, v50
	;; [unrolled: 1-line block ×3, first 2 shown]
	v_add_f16_e32 v50, v39, v42
	v_fmac_f16_e32 v3, 0x38b4, v51
	v_add_f16_e32 v51, v36, v44
	v_add_f16_e32 v45, v40, v45
	;; [unrolled: 1-line block ×4, first 2 shown]
	v_fma_f16 v50, -0.5, v50, v35
	v_sub_f16_e32 v34, v34, v40
	v_add_f16_e32 v40, v44, v35
	v_sub_f16_e32 v38, v41, v38
	v_fmac_f16_e32 v35, -0.5, v51
	v_fmac_f16_e32 v49, 0x34f2, v53
	v_fmac_f16_e32 v48, 0x34f2, v53
	v_fmac_f16_e32 v91, 0x34f2, v54
	v_fmac_f16_e32 v3, 0x34f2, v54
	v_fmamk_f16 v41, v34, 0x3b9c, v50
	v_sub_f16_e32 v51, v44, v42
	v_sub_f16_e32 v53, v36, v39
	v_fmamk_f16 v54, v38, 0xbb9c, v35
	v_sub_f16_e32 v44, v42, v44
	v_sub_f16_e32 v93, v39, v36
	v_fmac_f16_e32 v35, 0x3b9c, v38
	v_fmac_f16_e32 v41, 0x38b4, v38
	v_add_f16_e32 v51, v53, v51
	v_fmac_f16_e32 v54, 0x38b4, v34
	v_add_f16_e32 v44, v93, v44
	v_fmac_f16_e32 v35, 0xb8b4, v34
	v_fmac_f16_e32 v50, 0xbb9c, v34
	v_add_f16_e32 v34, v42, v40
	v_fmac_f16_e32 v41, 0x34f2, v51
	v_fmac_f16_e32 v54, 0x34f2, v44
	;; [unrolled: 1-line block ×4, first 2 shown]
	v_add_f16_e32 v34, v39, v34
	v_mul_f16_e32 v38, 0xb8b4, v41
	v_mul_f16_e32 v39, 0xbb9c, v54
	;; [unrolled: 1-line block ×3, first 2 shown]
	v_fmac_f16_e32 v50, 0x34f2, v51
	v_add_f16_e32 v34, v36, v34
	v_fmac_f16_e32 v38, 0x3a79, v49
	v_fmac_f16_e32 v39, 0x34f2, v91
	;; [unrolled: 1-line block ×3, first 2 shown]
	v_mul_f16_e32 v36, 0xb8b4, v50
	v_mul_f16_e32 v49, 0x38b4, v49
	;; [unrolled: 1-line block ×5, first 2 shown]
	v_add_f16_e32 v53, v2, v40
	v_fmac_f16_e32 v49, 0x3a79, v41
	v_fmac_f16_e32 v91, 0x34f2, v54
	;; [unrolled: 1-line block ×4, first 2 shown]
	v_add_f16_e32 v41, v34, v52
	v_sub_f16_e32 v2, v2, v40
	v_sub_f16_e32 v40, v52, v34
	v_mul_u32_u24_e32 v34, 10, v26
	v_add_f16_e32 v44, v79, v38
	v_add_f16_e32 v51, v92, v39
	;; [unrolled: 1-line block ×5, first 2 shown]
	v_sub_f16_e32 v38, v79, v38
	v_sub_f16_e32 v39, v92, v39
	;; [unrolled: 1-line block ×5, first 2 shown]
	v_lshl_add_u32 v94, v34, 1, 0
	v_pack_b32_f16 v34, v78, v80
	v_pack_b32_f16 v35, v76, v77
	v_add_f16_e32 v42, v45, v58
	v_fmac_f16_e32 v36, 0xba79, v48
	v_add_f16_e32 v54, v63, v49
	v_sub_f16_e32 v3, v58, v45
	v_sub_f16_e32 v45, v63, v49
	v_pack_b32_f16 v48, v83, v85
	v_pack_b32_f16 v49, v81, v82
	;; [unrolled: 1-line block ×3, first 2 shown]
	v_mul_i32_i24_e32 v33, 10, v29
	ds_write2_b32 v94, v35, v34 offset1:1
	ds_write2_b32 v94, v49, v48 offset0:2 offset1:3
	ds_write_b32 v94, v50 offset:16
	v_mul_i32_i24_e32 v34, 10, v30
	v_add_f16_e32 v93, v57, v36
	v_sub_f16_e32 v36, v57, v36
	v_lshl_add_u32 v33, v33, 1, 0
	v_pack_b32_f16 v52, v88, v89
	v_pack_b32_f16 v57, v73, v74
	;; [unrolled: 1-line block ×5, first 2 shown]
	v_lshl_add_u32 v34, v34, 1, 0
	v_pack_b32_f16 v47, v51, v53
	v_pack_b32_f16 v42, v42, v44
	;; [unrolled: 1-line block ×5, first 2 shown]
	ds_write2_b32 v33, v57, v52 offset1:1
	ds_write2_b32 v33, v43, v35 offset0:2 offset1:3
	ds_write_b32 v33, v37 offset:16
	ds_write2_b32 v34, v42, v47 offset1:1
	ds_write2_b32 v34, v3, v38 offset0:2 offset1:3
	ds_write_b32 v34, v2 offset:16
	v_mad_i32_i24 v35, 0xffffffee, v26, v94
	v_pack_b32_f16 v3, v69, v71
	v_pack_b32_f16 v39, v67, v68
	v_and_b32_e32 v42, 0xff, v26
	s_waitcnt lgkmcnt(0)
	s_barrier
	buffer_gl0_inv
	v_lshl_add_u32 v36, v31, 1, 0
	v_mad_i32_i24 v37, 0xffffffee, v29, v33
	v_mad_i32_i24 v38, 0xffffffee, v30, v34
	ds_read_u16 v49, v35
	ds_read_u16 v81, v35 offset:960
	ds_read_u16 v53, v35 offset:4560
	;; [unrolled: 1-line block ×4, first 2 shown]
	ds_read_u16 v2, v38
	ds_read_u16 v82, v35 offset:2400
	ds_read_u16 v80, v35 offset:2160
	;; [unrolled: 1-line block ×21, first 2 shown]
	ds_read_u16 v43, v37
	ds_read_u16 v110, v36
	ds_read_u16 v57, v35 offset:6960
	s_waitcnt lgkmcnt(0)
	s_barrier
	buffer_gl0_inv
	ds_write2_b32 v94, v39, v3 offset1:1
	v_mul_lo_u16 v3, 0xcd, v42
	v_pack_b32_f16 v39, v60, v61
	v_pack_b32_f16 v42, v56, v55
	v_add_f16_e32 v103, v99, v87
	v_sub_f16_e32 v87, v99, v87
	v_lshrrev_b16 v3, 11, v3
	v_pack_b32_f16 v44, v64, v65
	ds_write2_b32 v94, v42, v39 offset0:2 offset1:3
	v_pack_b32_f16 v55, v101, v102
	v_pack_b32_f16 v56, v90, v100
	v_mul_lo_u16 v39, v3, 10
	v_pack_b32_f16 v60, v72, v75
	v_pack_b32_f16 v46, v103, v46
	ds_write_b32 v94, v44 offset:16
	ds_write2_b32 v33, v56, v55 offset1:1
	ds_write2_b32 v33, v46, v60 offset0:2 offset1:3
	v_pack_b32_f16 v42, v66, v87
	v_sub_nc_u16 v39, v26, v39
	v_mov_b32_e32 v46, 9
	v_pack_b32_f16 v44, v95, v96
	v_pack_b32_f16 v41, v41, v54
	;; [unrolled: 1-line block ×4, first 2 shown]
	v_mul_u32_u24_sdwa v54, v39, v46 dst_sel:DWORD dst_unused:UNUSED_PAD src0_sel:BYTE_0 src1_sel:DWORD
	ds_write_b32 v33, v42 offset:16
	ds_write2_b32 v34, v41, v44 offset1:1
	ds_write2_b32 v34, v40, v45 offset0:2 offset1:3
	v_and_b32_e32 v40, 0xff, v29
	v_pack_b32_f16 v55, v91, v92
	v_lshlrev_b32_e32 v54, 2, v54
	v_cmp_gt_u32_e64 s0, 0x64, v26
	v_mul_lo_u16 v41, 0xcd, v40
	ds_write_b32 v34, v55 offset:16
	s_waitcnt lgkmcnt(0)
	s_barrier
	buffer_gl0_inv
	s_clause 0x1
	global_load_dwordx4 v[64:67], v54, s[8:9]
	global_load_dwordx4 v[71:74], v54, s[8:9] offset:16
	v_lshrrev_b16 v41, 11, v41
	v_mul_lo_u16 v42, v41, 10
	v_sub_nc_u16 v42, v29, v42
	v_mul_u32_u24_sdwa v44, v42, v46 dst_sel:DWORD dst_unused:UNUSED_PAD src0_sel:BYTE_0 src1_sel:DWORD
	v_lshlrev_b32_e32 v55, 2, v44
	v_mov_b32_e32 v44, 0xcccd
	s_clause 0x1
	global_load_dwordx4 v[75:78], v55, s[8:9]
	global_load_dwordx4 v[94:97], v55, s[8:9] offset:16
	v_mul_u32_u24_sdwa v44, v30, v44 dst_sel:DWORD dst_unused:UNUSED_PAD src0_sel:WORD_0 src1_sel:DWORD
	s_clause 0x1
	global_load_dword v56, v54, s[8:9] offset:32
	global_load_dword v55, v55, s[8:9] offset:32
	v_lshrrev_b32_e32 v44, 19, v44
	v_mul_lo_u16 v45, v44, 10
	v_sub_nc_u16 v45, v30, v45
	v_mul_u32_u24_sdwa v46, v45, v46 dst_sel:DWORD dst_unused:UNUSED_PAD src0_sel:WORD_0 src1_sel:DWORD
	v_lshlrev_b32_e32 v46, 2, v46
	s_clause 0x2
	global_load_dwordx4 v[98:101], v46, s[8:9]
	global_load_dwordx4 v[102:105], v46, s[8:9] offset:16
	global_load_dword v60, v46, s[8:9] offset:32
	ds_read_u16 v61, v36
	ds_read_u16 v68, v35 offset:960
	ds_read_u16 v69, v35 offset:1440
	;; [unrolled: 1-line block ×9, first 2 shown]
	ds_read_u16 v54, v37
	ds_read_u16 v46, v38
	ds_read_u16 v113, v35 offset:1920
	ds_read_u16 v114, v35 offset:1200
	;; [unrolled: 1-line block ×9, first 2 shown]
	s_waitcnt vmcnt(8) lgkmcnt(20)
	v_mul_f16_sdwa v121, v61, v64 dst_sel:DWORD dst_unused:UNUSED_PAD src0_sel:DWORD src1_sel:WORD_1
	v_mul_f16_sdwa v123, v110, v64 dst_sel:DWORD dst_unused:UNUSED_PAD src0_sel:DWORD src1_sel:WORD_1
	;; [unrolled: 1-line block ×3, first 2 shown]
	s_waitcnt lgkmcnt(18)
	v_mul_f16_sdwa v124, v69, v65 dst_sel:DWORD dst_unused:UNUSED_PAD src0_sel:DWORD src1_sel:WORD_1
	s_waitcnt vmcnt(7) lgkmcnt(3)
	v_mul_f16_sdwa v126, v118, v71 dst_sel:DWORD dst_unused:UNUSED_PAD src0_sel:DWORD src1_sel:WORD_1
	v_fmac_f16_e32 v121, v110, v64
	v_mul_f16_sdwa v110, v87, v66 dst_sel:DWORD dst_unused:UNUSED_PAD src0_sel:DWORD src1_sel:WORD_1
	v_fma_f16 v61, v61, v64, -v123
	v_fma_f16 v64, v69, v65, -v125
	ds_read_u16 v69, v35 offset:5760
	v_fmac_f16_e32 v124, v84, v65
	v_mul_f16_sdwa v65, v80, v66 dst_sel:DWORD dst_unused:UNUSED_PAD src0_sel:DWORD src1_sel:WORD_1
	v_fmac_f16_e32 v110, v80, v66
	v_mul_f16_sdwa v123, v91, v67 dst_sel:DWORD dst_unused:UNUSED_PAD src0_sel:DWORD src1_sel:WORD_1
	v_mul_f16_sdwa v80, v93, v67 dst_sel:DWORD dst_unused:UNUSED_PAD src0_sel:DWORD src1_sel:WORD_1
	;; [unrolled: 1-line block ×3, first 2 shown]
	v_fmac_f16_e32 v126, v88, v71
	v_fma_f16 v65, v87, v66, -v65
	v_fmac_f16_e32 v123, v93, v67
	v_fma_f16 v125, v91, v67, -v80
	v_mul_f16_sdwa v67, v88, v71 dst_sel:DWORD dst_unused:UNUSED_PAD src0_sel:DWORD src1_sel:WORD_1
	v_fmac_f16_e32 v129, v85, v72
	ds_read_u16 v66, v35 offset:6000
	ds_read_u16 v87, v35 offset:6240
	;; [unrolled: 1-line block ×4, first 2 shown]
	v_mul_f16_sdwa v80, v109, v73 dst_sel:DWORD dst_unused:UNUSED_PAD src0_sel:DWORD src1_sel:WORD_1
	v_fma_f16 v71, v118, v71, -v67
	v_mul_f16_sdwa v67, v85, v72 dst_sel:DWORD dst_unused:UNUSED_PAD src0_sel:DWORD src1_sel:WORD_1
	v_mul_f16_sdwa v118, v92, v73 dst_sel:DWORD dst_unused:UNUSED_PAD src0_sel:DWORD src1_sel:WORD_1
	s_waitcnt vmcnt(6)
	v_mul_f16_sdwa v133, v111, v78 dst_sel:DWORD dst_unused:UNUSED_PAD src0_sel:DWORD src1_sel:WORD_1
	s_waitcnt lgkmcnt(4)
	v_mul_f16_sdwa v85, v69, v74 dst_sel:DWORD dst_unused:UNUSED_PAD src0_sel:DWORD src1_sel:WORD_1
	s_waitcnt vmcnt(5)
	v_mul_f16_sdwa v93, v117, v94 dst_sel:DWORD dst_unused:UNUSED_PAD src0_sel:DWORD src1_sel:WORD_1
	v_fma_f16 v115, v115, v72, -v67
	v_mul_f16_sdwa v67, v107, v74 dst_sel:DWORD dst_unused:UNUSED_PAD src0_sel:DWORD src1_sel:WORD_1
	v_mul_f16_sdwa v72, v81, v75 dst_sel:DWORD dst_unused:UNUSED_PAD src0_sel:DWORD src1_sel:WORD_1
	v_fmac_f16_e32 v85, v107, v74
	ds_read_u16 v107, v35
	v_fmac_f16_e32 v118, v109, v73
	v_fma_f16 v130, v69, v74, -v67
	ds_read_u16 v67, v35 offset:4560
	v_fma_f16 v84, v68, v75, -v72
	ds_read_u16 v72, v35 offset:6480
	ds_read_u16 v74, v35 offset:6720
	v_fma_f16 v109, v92, v73, -v80
	v_mul_f16_sdwa v80, v68, v75 dst_sel:DWORD dst_unused:UNUSED_PAD src0_sel:DWORD src1_sel:WORD_1
	v_mul_f16_sdwa v68, v82, v77 dst_sel:DWORD dst_unused:UNUSED_PAD src0_sel:DWORD src1_sel:WORD_1
	;; [unrolled: 1-line block ×4, first 2 shown]
	v_fmac_f16_e32 v133, v89, v78
	v_fmac_f16_e32 v80, v81, v75
	v_fma_f16 v92, v90, v77, -v68
	v_mul_f16_sdwa v68, v86, v94 dst_sel:DWORD dst_unused:UNUSED_PAD src0_sel:DWORD src1_sel:WORD_1
	v_fma_f16 v132, v79, v76, -v69
	v_mul_f16_sdwa v69, v89, v78 dst_sel:DWORD dst_unused:UNUSED_PAD src0_sel:DWORD src1_sel:WORD_1
	v_fmac_f16_e32 v93, v86, v94
	v_mul_f16_sdwa v91, v90, v77 dst_sel:DWORD dst_unused:UNUSED_PAD src0_sel:DWORD src1_sel:WORD_1
	v_fma_f16 v88, v117, v94, -v68
	v_mul_f16_sdwa v68, v53, v95 dst_sel:DWORD dst_unused:UNUSED_PAD src0_sel:DWORD src1_sel:WORD_1
	v_fma_f16 v111, v111, v78, -v69
	s_waitcnt lgkmcnt(2)
	v_mul_f16_sdwa v134, v67, v95 dst_sel:DWORD dst_unused:UNUSED_PAD src0_sel:DWORD src1_sel:WORD_1
	v_mul_f16_sdwa v69, v108, v96 dst_sel:DWORD dst_unused:UNUSED_PAD src0_sel:DWORD src1_sel:WORD_1
	;; [unrolled: 1-line block ×3, first 2 shown]
	v_fma_f16 v135, v67, v95, -v68
	s_waitcnt vmcnt(4) lgkmcnt(1)
	v_mul_f16_sdwa v68, v72, v56 dst_sel:DWORD dst_unused:UNUSED_PAD src0_sel:DWORD src1_sel:WORD_1
	v_mul_f16_sdwa v67, v48, v56 dst_sel:DWORD dst_unused:UNUSED_PAD src0_sel:DWORD src1_sel:WORD_1
	v_fmac_f16_e32 v134, v53, v95
	v_fma_f16 v89, v112, v96, -v69
	v_mul_f16_sdwa v53, v106, v97 dst_sel:DWORD dst_unused:UNUSED_PAD src0_sel:DWORD src1_sel:WORD_1
	s_waitcnt vmcnt(3)
	v_mul_f16_sdwa v69, v47, v55 dst_sel:DWORD dst_unused:UNUSED_PAD src0_sel:DWORD src1_sel:WORD_1
	v_fmac_f16_e32 v68, v48, v56
	v_fma_f16 v75, v72, v56, -v67
	s_waitcnt vmcnt(2)
	v_mul_f16_sdwa v56, v62, v101 dst_sel:DWORD dst_unused:UNUSED_PAD src0_sel:DWORD src1_sel:WORD_1
	v_fmac_f16_e32 v131, v83, v76
	v_fmac_f16_e32 v94, v108, v96
	s_waitcnt lgkmcnt(0)
	v_mul_f16_sdwa v95, v74, v55 dst_sel:DWORD dst_unused:UNUSED_PAD src0_sel:DWORD src1_sel:WORD_1
	v_fma_f16 v96, v66, v97, -v53
	v_mul_f16_sdwa v53, v51, v99 dst_sel:DWORD dst_unused:UNUSED_PAD src0_sel:DWORD src1_sel:WORD_1
	v_fma_f16 v90, v74, v55, -v69
	;; [unrolled: 2-line block ×3, first 2 shown]
	s_waitcnt vmcnt(1)
	v_mul_f16_sdwa v72, v128, v103 dst_sel:DWORD dst_unused:UNUSED_PAD src0_sel:DWORD src1_sel:WORD_1
	v_mul_f16_sdwa v56, v127, v104 dst_sel:DWORD dst_unused:UNUSED_PAD src0_sel:DWORD src1_sel:WORD_1
	;; [unrolled: 1-line block ×3, first 2 shown]
	v_add_f16_e32 v76, v49, v124
	v_mul_f16_sdwa v117, v66, v97 dst_sel:DWORD dst_unused:UNUSED_PAD src0_sel:DWORD src1_sel:WORD_1
	v_fmac_f16_e32 v95, v47, v55
	v_mul_f16_sdwa v73, v113, v99 dst_sel:DWORD dst_unused:UNUSED_PAD src0_sel:DWORD src1_sel:WORD_1
	v_fma_f16 v66, v113, v99, -v53
	v_mul_f16_sdwa v53, v122, v100 dst_sel:DWORD dst_unused:UNUSED_PAD src0_sel:DWORD src1_sel:WORD_1
	v_mul_f16_sdwa v55, v116, v102 dst_sel:DWORD dst_unused:UNUSED_PAD src0_sel:DWORD src1_sel:WORD_1
	v_fmac_f16_e32 v69, v62, v101
	v_mul_f16_sdwa v62, v63, v103 dst_sel:DWORD dst_unused:UNUSED_PAD src0_sel:DWORD src1_sel:WORD_1
	v_mul_f16_sdwa v74, v58, v104 dst_sel:DWORD dst_unused:UNUSED_PAD src0_sel:DWORD src1_sel:WORD_1
	v_fmac_f16_e32 v72, v63, v103
	v_fmac_f16_e32 v56, v58, v104
	v_mul_f16_sdwa v63, v59, v105 dst_sel:DWORD dst_unused:UNUSED_PAD src0_sel:DWORD src1_sel:WORD_1
	s_waitcnt vmcnt(0)
	v_mul_f16_sdwa v58, v120, v60 dst_sel:DWORD dst_unused:UNUSED_PAD src0_sel:DWORD src1_sel:WORD_1
	v_fmac_f16_e32 v79, v59, v105
	v_add_f16_e32 v59, v76, v123
	v_fmac_f16_e32 v91, v82, v77
	v_mul_f16_sdwa v47, v114, v98 dst_sel:DWORD dst_unused:UNUSED_PAD src0_sel:DWORD src1_sel:WORD_1
	v_fmac_f16_e32 v73, v51, v99
	v_mul_f16_sdwa v51, v70, v100 dst_sel:DWORD dst_unused:UNUSED_PAD src0_sel:DWORD src1_sel:WORD_1
	v_fmac_f16_e32 v53, v70, v100
	v_fmac_f16_e32 v55, v50, v102
	v_mul_f16_sdwa v50, v50, v102 dst_sel:DWORD dst_unused:UNUSED_PAD src0_sel:DWORD src1_sel:WORD_1
	v_fma_f16 v70, v128, v103, -v62
	v_add_f16_e32 v62, v123, v129
	v_fmac_f16_e32 v58, v57, v60
	v_sub_f16_e32 v76, v124, v123
	v_sub_f16_e32 v77, v85, v129
	v_add_f16_e32 v78, v124, v85
	v_mul_f16_sdwa v57, v57, v60 dst_sel:DWORD dst_unused:UNUSED_PAD src0_sel:DWORD src1_sel:WORD_1
	v_add_f16_e32 v59, v59, v129
	v_fmac_f16_e32 v117, v106, v97
	v_mul_f16_sdwa v48, v52, v98 dst_sel:DWORD dst_unused:UNUSED_PAD src0_sel:DWORD src1_sel:WORD_1
	v_fmac_f16_e32 v47, v52, v98
	v_fma_f16 v52, v122, v100, -v51
	v_fma_f16 v51, v116, v102, -v50
	;; [unrolled: 1-line block ×3, first 2 shown]
	v_fma_f16 v97, -0.5, v62, v49
	v_sub_f16_e32 v62, v64, v130
	v_fma_f16 v74, v87, v105, -v63
	v_sub_f16_e32 v63, v125, v115
	v_add_f16_e32 v76, v76, v77
	v_fmac_f16_e32 v49, -0.5, v78
	v_fma_f16 v57, v120, v60, -v57
	v_add_f16_e32 v83, v59, v85
	v_sub_f16_e32 v59, v123, v124
	v_sub_f16_e32 v60, v129, v85
	v_add_f16_e32 v77, v107, v64
	v_fmamk_f16 v82, v62, 0xbb9c, v97
	v_fmac_f16_e32 v97, 0x3b9c, v62
	v_fmamk_f16 v86, v63, 0x3b9c, v49
	v_add_f16_e32 v78, v125, v115
	v_add_f16_e32 v59, v59, v60
	v_fmac_f16_e32 v49, 0xbb9c, v63
	v_add_f16_e32 v60, v77, v125
	v_fma_f16 v48, v114, v98, -v48
	v_fmac_f16_e32 v82, 0xb8b4, v63
	v_fmac_f16_e32 v97, 0x38b4, v63
	;; [unrolled: 1-line block ×3, first 2 shown]
	v_fma_f16 v98, -0.5, v78, v107
	v_sub_f16_e32 v63, v124, v85
	v_fmac_f16_e32 v49, 0x38b4, v62
	v_add_f16_e32 v60, v60, v115
	v_add_f16_e32 v62, v64, v130
	v_fmac_f16_e32 v82, 0x34f2, v76
	v_fmac_f16_e32 v97, 0x34f2, v76
	v_fmamk_f16 v99, v63, 0x3b9c, v98
	v_sub_f16_e32 v76, v123, v129
	v_sub_f16_e32 v77, v64, v125
	;; [unrolled: 1-line block ×3, first 2 shown]
	v_fmac_f16_e32 v107, -0.5, v62
	v_add_f16_e32 v100, v60, v130
	v_fmac_f16_e32 v98, 0xbb9c, v63
	v_sub_f16_e32 v60, v125, v64
	v_sub_f16_e32 v62, v115, v130
	v_add_f16_e32 v64, v121, v110
	v_fmac_f16_e32 v86, 0x34f2, v59
	v_fmac_f16_e32 v49, 0x34f2, v59
	;; [unrolled: 1-line block ×3, first 2 shown]
	v_add_f16_e32 v59, v77, v78
	v_fmamk_f16 v101, v76, 0xbb9c, v107
	v_fmac_f16_e32 v98, 0xb8b4, v76
	v_add_f16_e32 v60, v60, v62
	v_fmac_f16_e32 v107, 0x3b9c, v76
	v_add_f16_e32 v62, v64, v126
	v_add_f16_e32 v64, v126, v118
	v_fmac_f16_e32 v99, 0x34f2, v59
	v_fmac_f16_e32 v101, 0x38b4, v63
	;; [unrolled: 1-line block ×4, first 2 shown]
	v_add_f16_e32 v59, v62, v118
	v_fma_f16 v62, -0.5, v64, v121
	v_add_f16_e32 v63, v110, v68
	v_sub_f16_e32 v64, v65, v75
	v_fmac_f16_e32 v101, 0x34f2, v60
	v_fmac_f16_e32 v107, 0x34f2, v60
	v_add_f16_e32 v85, v59, v68
	v_sub_f16_e32 v59, v71, v109
	v_fmac_f16_e32 v121, -0.5, v63
	v_fmamk_f16 v60, v64, 0xbb9c, v62
	v_sub_f16_e32 v63, v110, v126
	v_sub_f16_e32 v76, v68, v118
	v_fmac_f16_e32 v62, 0x3b9c, v64
	v_fmamk_f16 v87, v59, 0x3b9c, v121
	v_fmac_f16_e32 v60, 0xb8b4, v59
	v_sub_f16_e32 v77, v126, v110
	v_add_f16_e32 v63, v63, v76
	v_fmac_f16_e32 v62, 0x38b4, v59
	v_sub_f16_e32 v78, v118, v68
	v_fmac_f16_e32 v121, 0xbb9c, v59
	v_add_f16_e32 v59, v71, v109
	v_fmac_f16_e32 v60, 0x34f2, v63
	v_fmac_f16_e32 v62, 0x34f2, v63
	v_add_f16_e32 v63, v65, v75
	v_fmac_f16_e32 v87, 0xb8b4, v64
	v_add_f16_e32 v76, v77, v78
	v_fmac_f16_e32 v121, 0x38b4, v64
	v_fma_f16 v59, -0.5, v59, v61
	v_sub_f16_e32 v64, v110, v68
	v_add_f16_e32 v68, v61, v65
	v_sub_f16_e32 v77, v126, v118
	v_fmac_f16_e32 v61, -0.5, v63
	v_fmac_f16_e32 v87, 0x34f2, v76
	v_fmac_f16_e32 v121, 0x34f2, v76
	v_fmamk_f16 v63, v64, 0x3b9c, v59
	v_sub_f16_e32 v76, v65, v71
	v_sub_f16_e32 v78, v75, v109
	v_fmamk_f16 v81, v77, 0xbb9c, v61
	v_sub_f16_e32 v65, v71, v65
	v_sub_f16_e32 v102, v109, v75
	v_fmac_f16_e32 v61, 0x3b9c, v77
	v_fmac_f16_e32 v63, 0x38b4, v77
	v_add_f16_e32 v76, v76, v78
	v_fmac_f16_e32 v81, 0x38b4, v64
	v_add_f16_e32 v65, v65, v102
	v_fmac_f16_e32 v59, 0xbb9c, v64
	v_fmac_f16_e32 v61, 0xb8b4, v64
	;; [unrolled: 1-line block ×3, first 2 shown]
	v_add_f16_e32 v64, v68, v71
	v_fmac_f16_e32 v81, 0x34f2, v65
	v_fmac_f16_e32 v59, 0xb8b4, v77
	;; [unrolled: 1-line block ×3, first 2 shown]
	v_mul_f16_e32 v65, 0xb8b4, v63
	v_add_f16_e32 v64, v64, v109
	v_mul_f16_e32 v68, 0xbb9c, v81
	v_fmac_f16_e32 v59, 0x34f2, v76
	v_mul_f16_e32 v71, 0xbb9c, v61
	v_fmac_f16_e32 v65, 0x3a79, v60
	;; [unrolled: 2-line block ×3, first 2 shown]
	v_mul_f16_e32 v102, 0xb8b4, v59
	v_add_f16_e32 v64, v64, v75
	v_fmac_f16_e32 v71, 0xb4f2, v121
	v_add_f16_e32 v77, v83, v85
	v_add_f16_e32 v78, v82, v65
	;; [unrolled: 1-line block ×3, first 2 shown]
	v_fmac_f16_e32 v102, 0xba79, v62
	v_mul_f16_e32 v103, 0x3a79, v63
	v_mul_f16_e32 v105, 0xb4f2, v61
	v_fmac_f16_e32 v104, 0x3b9c, v87
	v_sub_f16_e32 v83, v83, v85
	v_sub_f16_e32 v82, v82, v65
	v_add_f16_e32 v65, v133, v134
	v_sub_f16_e32 v85, v86, v68
	v_add_f16_e32 v68, v43, v131
	v_add_f16_e32 v76, v49, v71
	v_mul_f16_e32 v106, 0xba79, v59
	v_add_f16_e32 v81, v97, v102
	v_fmac_f16_e32 v103, 0x38b4, v60
	v_fmac_f16_e32 v105, 0x3b9c, v121
	v_add_f16_e32 v61, v101, v104
	v_sub_f16_e32 v86, v49, v71
	v_sub_f16_e32 v87, v97, v102
	v_fma_f16 v97, -0.5, v65, v43
	v_sub_f16_e32 v65, v101, v104
	v_add_f16_e32 v71, v68, v133
	v_add_f16_e32 v104, v131, v117
	v_fmac_f16_e32 v106, 0x38b4, v62
	v_add_f16_e32 v59, v100, v64
	v_add_f16_e32 v60, v99, v103
	;; [unrolled: 1-line block ×3, first 2 shown]
	v_sub_f16_e32 v102, v132, v96
	v_sub_f16_e32 v49, v100, v64
	;; [unrolled: 1-line block ×7, first 2 shown]
	v_add_f16_e32 v105, v71, v134
	v_fmac_f16_e32 v43, -0.5, v104
	v_add_f16_e32 v63, v98, v106
	v_fmamk_f16 v99, v102, 0xbb9c, v97
	v_add_f16_e32 v101, v101, v103
	v_sub_f16_e32 v71, v98, v106
	v_add_f16_e32 v98, v105, v117
	v_fmac_f16_e32 v97, 0x3b9c, v102
	v_fmamk_f16 v103, v100, 0x3b9c, v43
	v_sub_f16_e32 v104, v133, v131
	v_sub_f16_e32 v105, v134, v117
	v_add_f16_e32 v106, v54, v132
	v_add_f16_e32 v107, v111, v135
	v_fmac_f16_e32 v43, 0xbb9c, v100
	v_fmac_f16_e32 v99, 0xb8b4, v100
	;; [unrolled: 1-line block ×4, first 2 shown]
	v_add_f16_e32 v104, v104, v105
	v_add_f16_e32 v100, v106, v111
	v_fma_f16 v105, -0.5, v107, v54
	v_sub_f16_e32 v106, v131, v117
	v_fmac_f16_e32 v43, 0x38b4, v102
	v_add_f16_e32 v102, v132, v96
	v_sub_f16_e32 v108, v132, v111
	v_sub_f16_e32 v109, v96, v135
	v_fmac_f16_e32 v99, 0x34f2, v101
	v_fmac_f16_e32 v97, 0x34f2, v101
	v_add_f16_e32 v100, v100, v135
	v_fmamk_f16 v101, v106, 0x3b9c, v105
	v_sub_f16_e32 v107, v133, v134
	v_fmac_f16_e32 v54, -0.5, v102
	v_add_f16_e32 v102, v108, v109
	v_fmac_f16_e32 v105, 0xbb9c, v106
	v_add_f16_e32 v109, v80, v91
	v_fmac_f16_e32 v103, 0x34f2, v104
	v_fmac_f16_e32 v43, 0x34f2, v104
	v_add_f16_e32 v100, v100, v96
	v_fmac_f16_e32 v101, 0x38b4, v107
	v_fmamk_f16 v104, v107, 0xbb9c, v54
	v_sub_f16_e32 v108, v111, v132
	v_sub_f16_e32 v96, v135, v96
	v_fmac_f16_e32 v105, 0xb8b4, v107
	v_fmac_f16_e32 v54, 0x3b9c, v107
	v_add_f16_e32 v107, v109, v93
	v_fmac_f16_e32 v101, 0x34f2, v102
	v_fmac_f16_e32 v104, 0x38b4, v106
	v_add_f16_e32 v96, v108, v96
	v_add_f16_e32 v108, v93, v94
	v_fmac_f16_e32 v105, 0x34f2, v102
	v_fmac_f16_e32 v54, 0xb8b4, v106
	v_add_f16_e32 v102, v107, v94
	v_add_f16_e32 v107, v91, v95
	v_fmac_f16_e32 v104, 0x34f2, v96
	v_fma_f16 v106, -0.5, v108, v80
	v_sub_f16_e32 v108, v92, v90
	v_fmac_f16_e32 v54, 0x34f2, v96
	v_add_f16_e32 v96, v102, v95
	v_sub_f16_e32 v102, v88, v89
	v_fmac_f16_e32 v80, -0.5, v107
	v_fmamk_f16 v107, v108, 0xbb9c, v106
	v_fmac_f16_e32 v106, 0x3b9c, v108
	v_sub_f16_e32 v109, v91, v93
	v_sub_f16_e32 v110, v95, v94
	v_fmamk_f16 v111, v102, 0x3b9c, v80
	v_fmac_f16_e32 v80, 0xbb9c, v102
	v_sub_f16_e32 v112, v93, v91
	v_sub_f16_e32 v113, v94, v95
	v_fmac_f16_e32 v107, 0xb8b4, v102
	v_fmac_f16_e32 v106, 0x38b4, v102
	;; [unrolled: 1-line block ×3, first 2 shown]
	v_add_f16_e32 v102, v88, v89
	v_fmac_f16_e32 v80, 0x38b4, v108
	v_add_f16_e32 v108, v92, v90
	v_add_f16_e32 v109, v109, v110
	;; [unrolled: 1-line block ×3, first 2 shown]
	v_fma_f16 v102, -0.5, v102, v84
	v_sub_f16_e32 v91, v91, v95
	v_add_f16_e32 v95, v84, v92
	v_sub_f16_e32 v93, v93, v94
	v_fmac_f16_e32 v84, -0.5, v108
	v_fmac_f16_e32 v111, 0x34f2, v110
	v_fmac_f16_e32 v80, 0x34f2, v110
	v_sub_f16_e32 v108, v92, v88
	v_sub_f16_e32 v92, v88, v92
	v_fmamk_f16 v110, v93, 0xbb9c, v84
	v_sub_f16_e32 v112, v89, v90
	v_fmac_f16_e32 v107, 0x34f2, v109
	v_fmac_f16_e32 v106, 0x34f2, v109
	v_fmamk_f16 v94, v91, 0x3b9c, v102
	v_sub_f16_e32 v109, v90, v89
	v_fmac_f16_e32 v84, 0x3b9c, v93
	v_fmac_f16_e32 v110, 0x38b4, v91
	v_add_f16_e32 v92, v92, v112
	v_fmac_f16_e32 v102, 0xbb9c, v91
	v_fmac_f16_e32 v94, 0x38b4, v93
	v_add_f16_e32 v108, v108, v109
	v_fmac_f16_e32 v84, 0xb8b4, v91
	v_add_f16_e32 v88, v95, v88
	v_fmac_f16_e32 v110, 0x34f2, v92
	v_fmac_f16_e32 v102, 0xb8b4, v93
	;; [unrolled: 1-line block ×4, first 2 shown]
	v_add_f16_e32 v88, v88, v89
	v_mul_f16_e32 v91, 0xbb9c, v110
	v_fmac_f16_e32 v102, 0x34f2, v108
	v_mul_f16_e32 v110, 0x34f2, v110
	v_mul_f16_e32 v89, 0xb8b4, v94
	;; [unrolled: 1-line block ×3, first 2 shown]
	v_add_f16_e32 v88, v88, v90
	v_mul_f16_e32 v90, 0xb8b4, v102
	v_mul_f16_e32 v94, 0x3a79, v94
	;; [unrolled: 1-line block ×3, first 2 shown]
	v_fmac_f16_e32 v110, 0x3b9c, v111
	v_fmac_f16_e32 v91, 0x34f2, v111
	v_fmac_f16_e32 v92, 0xb4f2, v80
	v_add_f16_e32 v93, v98, v96
	v_fmac_f16_e32 v90, 0xba79, v106
	v_mul_f16_e32 v102, 0xba79, v102
	v_fmac_f16_e32 v94, 0x38b4, v107
	v_fmac_f16_e32 v84, 0x3b9c, v80
	v_add_f16_e32 v111, v104, v110
	v_sub_f16_e32 v80, v98, v96
	v_add_f16_e32 v96, v69, v72
	v_sub_f16_e32 v98, v104, v110
	v_add_f16_e32 v104, v73, v79
	v_fmac_f16_e32 v89, 0x3a79, v107
	v_add_f16_e32 v108, v103, v91
	v_add_f16_e32 v109, v43, v92
	;; [unrolled: 1-line block ×3, first 2 shown]
	v_fmac_f16_e32 v102, 0x38b4, v106
	v_add_f16_e32 v106, v100, v88
	v_add_f16_e32 v107, v101, v94
	v_sub_f16_e32 v91, v103, v91
	v_sub_f16_e32 v92, v43, v92
	;; [unrolled: 1-line block ×3, first 2 shown]
	v_add_f16_e32 v43, v2, v73
	v_fma_f16 v96, -0.5, v96, v2
	v_sub_f16_e32 v97, v66, v74
	v_sub_f16_e32 v88, v100, v88
	;; [unrolled: 1-line block ×6, first 2 shown]
	v_fmac_f16_e32 v2, -0.5, v104
	v_add_f16_e32 v95, v99, v89
	v_add_f16_e32 v113, v54, v84
	;; [unrolled: 1-line block ×3, first 2 shown]
	v_sub_f16_e32 v89, v99, v89
	v_add_f16_e32 v43, v43, v69
	v_fmamk_f16 v99, v97, 0xbb9c, v96
	v_sub_f16_e32 v110, v54, v84
	v_add_f16_e32 v54, v101, v103
	v_sub_f16_e32 v101, v105, v102
	v_fmac_f16_e32 v96, 0x3b9c, v97
	v_fmamk_f16 v84, v100, 0x3b9c, v2
	v_sub_f16_e32 v102, v69, v73
	v_sub_f16_e32 v103, v72, v79
	v_add_f16_e32 v104, v46, v66
	v_add_f16_e32 v105, v67, v70
	v_fmac_f16_e32 v2, 0xbb9c, v100
	v_add_f16_e32 v43, v43, v72
	v_fmac_f16_e32 v99, 0xb8b4, v100
	v_fmac_f16_e32 v96, 0x38b4, v100
	;; [unrolled: 1-line block ×3, first 2 shown]
	v_add_f16_e32 v102, v102, v103
	v_add_f16_e32 v100, v104, v67
	v_fma_f16 v103, -0.5, v105, v46
	v_sub_f16_e32 v73, v73, v79
	v_fmac_f16_e32 v2, 0x38b4, v97
	v_add_f16_e32 v97, v66, v74
	v_add_f16_e32 v43, v43, v79
	v_fmac_f16_e32 v99, 0x34f2, v54
	v_fmac_f16_e32 v96, 0x34f2, v54
	v_add_f16_e32 v54, v100, v70
	v_fmamk_f16 v79, v73, 0x3b9c, v103
	v_sub_f16_e32 v69, v69, v72
	v_sub_f16_e32 v72, v66, v67
	;; [unrolled: 1-line block ×3, first 2 shown]
	v_fmac_f16_e32 v46, -0.5, v97
	v_fmac_f16_e32 v103, 0xbb9c, v73
	v_sub_f16_e32 v66, v67, v66
	v_sub_f16_e32 v67, v70, v74
	v_add_f16_e32 v70, v47, v53
	v_fmac_f16_e32 v79, 0x38b4, v69
	v_add_f16_e32 v72, v72, v100
	v_fmamk_f16 v97, v69, 0xbb9c, v46
	v_fmac_f16_e32 v103, 0xb8b4, v69
	v_add_f16_e32 v66, v66, v67
	v_fmac_f16_e32 v46, 0x3b9c, v69
	v_add_f16_e32 v67, v70, v55
	v_add_f16_e32 v69, v55, v56
	v_fmac_f16_e32 v79, 0x34f2, v72
	v_fmac_f16_e32 v97, 0x38b4, v73
	;; [unrolled: 1-line block ×4, first 2 shown]
	v_add_f16_e32 v67, v67, v56
	v_fma_f16 v69, -0.5, v69, v47
	v_add_f16_e32 v70, v53, v58
	v_sub_f16_e32 v72, v52, v57
	v_fmac_f16_e32 v97, 0x34f2, v66
	v_fmac_f16_e32 v46, 0x34f2, v66
	v_add_f16_e32 v66, v67, v58
	v_sub_f16_e32 v67, v51, v50
	v_fmac_f16_e32 v47, -0.5, v70
	v_fmamk_f16 v70, v72, 0xbb9c, v69
	v_fmac_f16_e32 v69, 0x3b9c, v72
	v_add_f16_e32 v54, v54, v74
	v_sub_f16_e32 v73, v53, v55
	v_sub_f16_e32 v74, v58, v56
	v_fmamk_f16 v100, v67, 0x3b9c, v47
	v_fmac_f16_e32 v70, 0xb8b4, v67
	v_fmac_f16_e32 v69, 0x38b4, v67
	;; [unrolled: 1-line block ×3, first 2 shown]
	v_add_f16_e32 v67, v51, v50
	v_fmac_f16_e32 v84, 0x34f2, v102
	v_fmac_f16_e32 v2, 0x34f2, v102
	v_sub_f16_e32 v102, v55, v53
	v_add_f16_e32 v73, v73, v74
	v_fmac_f16_e32 v100, 0xb8b4, v72
	v_fmac_f16_e32 v47, 0x38b4, v72
	v_add_f16_e32 v72, v52, v57
	v_fma_f16 v67, -0.5, v67, v48
	v_sub_f16_e32 v53, v53, v58
	v_sub_f16_e32 v104, v56, v58
	v_fmac_f16_e32 v70, 0x34f2, v73
	v_fmac_f16_e32 v69, 0x34f2, v73
	v_add_f16_e32 v58, v48, v52
	v_sub_f16_e32 v55, v55, v56
	v_fmac_f16_e32 v48, -0.5, v72
	v_fmamk_f16 v56, v53, 0x3b9c, v67
	v_sub_f16_e32 v72, v52, v51
	v_sub_f16_e32 v73, v57, v50
	v_fmac_f16_e32 v67, 0xbb9c, v53
	v_add_f16_e32 v74, v102, v104
	v_sub_f16_e32 v52, v51, v52
	v_sub_f16_e32 v102, v50, v57
	v_add_f16_e32 v72, v72, v73
	v_fmac_f16_e32 v67, 0xb8b4, v55
	v_fmac_f16_e32 v100, 0x34f2, v74
	;; [unrolled: 1-line block ×3, first 2 shown]
	v_fmamk_f16 v74, v55, 0xbb9c, v48
	v_fmac_f16_e32 v48, 0x3b9c, v55
	v_add_f16_e32 v51, v58, v51
	v_fmac_f16_e32 v67, 0x34f2, v72
	v_fmac_f16_e32 v56, 0x38b4, v55
	v_add_f16_e32 v52, v52, v102
	v_fmac_f16_e32 v48, 0xb8b4, v53
	v_add_f16_e32 v50, v51, v50
	v_mul_f16_e32 v55, 0xb8b4, v67
	v_mul_f16_e32 v67, 0xba79, v67
	v_fmac_f16_e32 v56, 0x34f2, v72
	v_fmac_f16_e32 v48, 0x34f2, v52
	v_add_f16_e32 v50, v50, v57
	v_add_f16_e32 v57, v43, v66
	v_fmac_f16_e32 v55, 0xba79, v69
	v_fmac_f16_e32 v67, 0x38b4, v69
	v_sub_f16_e32 v66, v43, v66
	v_mov_b32_e32 v69, 0xc8
	v_mov_b32_e32 v43, 1
	v_fmac_f16_e32 v74, 0x38b4, v53
	v_mul_f16_e32 v51, 0xb8b4, v56
	v_mul_f16_e32 v53, 0xbb9c, v48
	;; [unrolled: 1-line block ×3, first 2 shown]
	v_mul_u32_u24_sdwa v3, v3, v69 dst_sel:DWORD dst_unused:UNUSED_PAD src0_sel:WORD_0 src1_sel:DWORD
	v_lshlrev_b32_sdwa v39, v43, v39 dst_sel:DWORD dst_unused:UNUSED_PAD src0_sel:DWORD src1_sel:BYTE_0
	v_fmac_f16_e32 v74, 0x34f2, v52
	v_fmac_f16_e32 v51, 0x3a79, v70
	;; [unrolled: 1-line block ×4, first 2 shown]
	v_add3_u32 v3, 0, v3, v39
	v_mul_u32_u24_sdwa v39, v41, v69 dst_sel:DWORD dst_unused:UNUSED_PAD src0_sel:WORD_0 src1_sel:DWORD
	v_lshlrev_b32_sdwa v41, v43, v42 dst_sel:DWORD dst_unused:UNUSED_PAD src0_sel:DWORD src1_sel:BYTE_0
	v_mul_f16_e32 v52, 0xbb9c, v74
	v_add_f16_e32 v58, v99, v51
	v_add_f16_e32 v105, v46, v48
	v_sub_f16_e32 v51, v99, v51
	v_sub_f16_e32 v99, v46, v48
	v_add3_u32 v48, 0, v39, v41
	v_mul_u32_u24_e32 v39, 0xc8, v44
	v_lshlrev_b32_sdwa v41, v43, v45 dst_sel:DWORD dst_unused:UNUSED_PAD src0_sel:DWORD src1_sel:WORD_0
	v_fmac_f16_e32 v52, 0x34f2, v100
	v_add_f16_e32 v73, v2, v53
	v_sub_f16_e32 v2, v2, v53
	v_mul_f16_e32 v56, 0x3a79, v56
	v_add3_u32 v45, 0, v39, v41
	v_add_f16_e32 v72, v84, v52
	v_mul_f16_e32 v74, 0x34f2, v74
	v_add_f16_e32 v102, v96, v55
	v_sub_f16_e32 v52, v84, v52
	v_sub_f16_e32 v53, v96, v55
	s_barrier
	buffer_gl0_inv
	ds_write_b16 v3, v77
	ds_write_b16 v3, v78 offset:20
	ds_write_b16 v3, v75 offset:40
	ds_write_b16 v3, v76 offset:60
	ds_write_b16 v3, v81 offset:80
	ds_write_b16 v3, v83 offset:100
	ds_write_b16 v3, v82 offset:120
	ds_write_b16 v3, v85 offset:140
	ds_write_b16 v3, v86 offset:160
	ds_write_b16 v3, v87 offset:180
	ds_write_b16 v48, v93
	ds_write_b16 v48, v95 offset:20
	ds_write_b16 v48, v108 offset:40
	ds_write_b16 v48, v109 offset:60
	ds_write_b16 v48, v112 offset:80
	ds_write_b16 v48, v80 offset:100
	ds_write_b16 v48, v89 offset:120
	ds_write_b16 v48, v91 offset:140
	ds_write_b16 v48, v92 offset:160
	ds_write_b16 v48, v90 offset:180
	;; [unrolled: 10-line block ×3, first 2 shown]
	v_add_nc_u32_e32 v2, 0xffffff9c, v26
	v_fmac_f16_e32 v56, 0x38b4, v70
	v_fmac_f16_e32 v74, 0x3b9c, v100
	v_add_f16_e32 v47, v54, v50
	v_add_f16_e32 v115, v103, v67
	v_cndmask_b32_e64 v42, v2, v26, s0
	v_add_f16_e32 v100, v79, v56
	v_add_f16_e32 v104, v97, v74
	v_sub_f16_e32 v50, v54, v50
	v_sub_f16_e32 v96, v79, v56
	;; [unrolled: 1-line block ×4, first 2 shown]
	s_waitcnt lgkmcnt(0)
	s_barrier
	buffer_gl0_inv
	ds_read_u16 v54, v35 offset:6480
	ds_read_u16 v53, v35
	ds_read_u16 v85, v35 offset:1200
	ds_read_u16 v81, v35 offset:1440
	;; [unrolled: 1-line block ×6, first 2 shown]
	v_lshl_add_u32 v39, v32, 1, 0
	ds_read_u16 v83, v35 offset:4800
	ds_read_u16 v80, v35 offset:5040
	;; [unrolled: 1-line block ×17, first 2 shown]
	ds_read_u16 v46, v38
	ds_read_u16 v52, v37
	;; [unrolled: 1-line block ×4, first 2 shown]
	ds_read_u16 v55, v35 offset:6960
	s_waitcnt lgkmcnt(0)
	s_barrier
	buffer_gl0_inv
	ds_write_b16 v3, v59
	ds_write_b16 v3, v60 offset:20
	ds_write_b16 v3, v61 offset:40
	;; [unrolled: 1-line block ×9, first 2 shown]
	ds_write_b16 v48, v106
	ds_write_b16 v48, v107 offset:20
	ds_write_b16 v48, v111 offset:40
	ds_write_b16 v48, v113 offset:60
	ds_write_b16 v48, v114 offset:80
	v_mul_i32_i24_e32 v2, 5, v42
	v_mov_b32_e32 v3, 0
	ds_write_b16 v48, v88 offset:100
	ds_write_b16 v48, v94 offset:120
	ds_write_b16 v48, v98 offset:140
	ds_write_b16 v48, v110 offset:160
	ds_write_b16 v48, v101 offset:180
	ds_write_b16 v45, v47
	ds_write_b16 v45, v100 offset:20
	ds_write_b16 v45, v104 offset:40
	;; [unrolled: 1-line block ×9, first 2 shown]
	v_lshlrev_b64 v[47:48], 2, v[2:3]
	v_mul_lo_u16 v2, v40, 41
	v_lshrrev_b16 v45, 2, v30
	v_mov_b32_e32 v50, 0x147b
	v_mov_b32_e32 v65, 5
	s_waitcnt lgkmcnt(0)
	v_lshrrev_b16 v2, 12, v2
	v_add_co_u32 v63, s0, s8, v47
	v_add_co_ci_u32_e64 v64, s0, s9, v48, s0
	v_mul_lo_u16 v40, 0x64, v2
	v_mul_u32_u24_sdwa v45, v45, v50 dst_sel:DWORD dst_unused:UNUSED_PAD src0_sel:WORD_0 src1_sel:DWORD
	s_barrier
	buffer_gl0_inv
	global_load_dwordx4 v[59:62], v[63:64], off offset:360
	v_sub_nc_u16 v40, v29, v40
	v_lshrrev_b32_e32 v45, 17, v45
	v_lshrrev_b16 v49, 2, v31
	v_lshrrev_b16 v100, 2, v32
	v_cmp_lt_u32_e64 s0, 0x63, v26
	v_mul_u32_u24_sdwa v47, v40, v65 dst_sel:DWORD dst_unused:UNUSED_PAD src0_sel:BYTE_0 src1_sel:DWORD
	v_lshlrev_b32_e32 v42, 1, v42
	v_lshlrev_b32_sdwa v40, v43, v40 dst_sel:DWORD dst_unused:UNUSED_PAD src0_sel:DWORD src1_sel:BYTE_0
	v_lshlrev_b32_e32 v51, 2, v47
	v_mul_lo_u16 v47, 0x64, v45
	s_clause 0x1
	global_load_dwordx4 v[88:91], v51, s[8:9] offset:360
	global_load_dword v104, v51, s[8:9] offset:376
	v_sub_nc_u16 v48, v30, v47
	v_mul_u32_u24_sdwa v47, v49, v50 dst_sel:DWORD dst_unused:UNUSED_PAD src0_sel:WORD_0 src1_sel:DWORD
	v_mul_u32_u24_sdwa v50, v100, v50 dst_sel:DWORD dst_unused:UNUSED_PAD src0_sel:WORD_0 src1_sel:DWORD
	;; [unrolled: 1-line block ×3, first 2 shown]
	v_lshrrev_b32_e32 v47, 17, v47
	v_lshrrev_b32_e32 v50, 17, v50
	v_lshlrev_b32_e32 v68, 2, v49
	v_mul_lo_u16 v49, 0x64, v47
	global_load_dwordx4 v[92:95], v68, s[8:9] offset:360
	v_sub_nc_u16 v49, v31, v49
	v_mul_u32_u24_sdwa v71, v49, v65 dst_sel:DWORD dst_unused:UNUSED_PAD src0_sel:WORD_0 src1_sel:DWORD
	v_lshlrev_b32_e32 v71, 2, v71
	s_clause 0x1
	global_load_dwordx4 v[96:99], v71, s[8:9] offset:360
	global_load_dword v63, v[63:64], off offset:376
	v_mul_lo_u16 v64, 0x64, v50
	v_sub_nc_u16 v51, v32, v64
	global_load_dword v64, v68, s[8:9] offset:376
	v_mul_u32_u24_sdwa v65, v51, v65 dst_sel:DWORD dst_unused:UNUSED_PAD src0_sel:WORD_0 src1_sel:DWORD
	v_lshlrev_b32_e32 v65, 2, v65
	s_clause 0x2
	global_load_dword v68, v71, s[8:9] offset:376
	global_load_dwordx4 v[100:103], v65, s[8:9] offset:360
	global_load_dword v65, v65, s[8:9] offset:376
	ds_read_u16 v71, v35 offset:1200
	ds_read_u16 v105, v35 offset:2400
	;; [unrolled: 1-line block ×10, first 2 shown]
	ds_read_u16 v114, v35
	ds_read_u16 v116, v35 offset:3840
	ds_read_u16 v117, v35 offset:4080
	;; [unrolled: 1-line block ×5, first 2 shown]
	s_waitcnt vmcnt(9) lgkmcnt(15)
	v_mul_f16_sdwa v115, v71, v59 dst_sel:DWORD dst_unused:UNUSED_PAD src0_sel:DWORD src1_sel:WORD_1
	v_mul_f16_sdwa v120, v85, v59 dst_sel:DWORD dst_unused:UNUSED_PAD src0_sel:DWORD src1_sel:WORD_1
	;; [unrolled: 1-line block ×3, first 2 shown]
	s_waitcnt lgkmcnt(13)
	v_mul_f16_sdwa v123, v106, v61 dst_sel:DWORD dst_unused:UNUSED_PAD src0_sel:DWORD src1_sel:WORD_1
	s_waitcnt lgkmcnt(7)
	v_mul_f16_sdwa v126, v112, v62 dst_sel:DWORD dst_unused:UNUSED_PAD src0_sel:DWORD src1_sel:WORD_1
	v_fmac_f16_e32 v115, v85, v59
	v_mul_f16_sdwa v85, v105, v60 dst_sel:DWORD dst_unused:UNUSED_PAD src0_sel:DWORD src1_sel:WORD_1
	v_fma_f16 v59, v71, v59, -v120
	v_mul_f16_sdwa v71, v86, v61 dst_sel:DWORD dst_unused:UNUSED_PAD src0_sel:DWORD src1_sel:WORD_1
	v_fmac_f16_e32 v123, v86, v61
	v_mul_f16_sdwa v86, v83, v62 dst_sel:DWORD dst_unused:UNUSED_PAD src0_sel:DWORD src1_sel:WORD_1
	v_fmac_f16_e32 v85, v87, v60
	v_fma_f16 v60, v105, v60, -v121
	ds_read_u16 v87, v35 offset:5040
	ds_read_u16 v105, v35 offset:5280
	;; [unrolled: 1-line block ×6, first 2 shown]
	v_fma_f16 v61, v106, v61, -v71
	v_fmac_f16_e32 v126, v83, v62
	s_waitcnt vmcnt(8)
	v_mul_f16_sdwa v71, v109, v88 dst_sel:DWORD dst_unused:UNUSED_PAD src0_sel:DWORD src1_sel:WORD_1
	ds_read_u16 v83, v35 offset:2880
	v_mul_f16_sdwa v106, v81, v88 dst_sel:DWORD dst_unused:UNUSED_PAD src0_sel:DWORD src1_sel:WORD_1
	v_fma_f16 v62, v112, v62, -v86
	v_mul_f16_sdwa v86, v82, v89 dst_sel:DWORD dst_unused:UNUSED_PAD src0_sel:DWORD src1_sel:WORD_1
	v_fmac_f16_e32 v71, v81, v88
	v_mul_f16_sdwa v81, v107, v89 dst_sel:DWORD dst_unused:UNUSED_PAD src0_sel:DWORD src1_sel:WORD_1
	v_fma_f16 v88, v109, v88, -v106
	s_waitcnt lgkmcnt(11)
	v_mul_f16_sdwa v106, v116, v90 dst_sel:DWORD dst_unused:UNUSED_PAD src0_sel:DWORD src1_sel:WORD_1
	v_mul_f16_sdwa v109, v84, v90 dst_sel:DWORD dst_unused:UNUSED_PAD src0_sel:DWORD src1_sel:WORD_1
	v_fma_f16 v86, v107, v89, -v86
	v_fmac_f16_e32 v81, v82, v89
	s_waitcnt lgkmcnt(6)
	v_mul_f16_sdwa v82, v87, v91 dst_sel:DWORD dst_unused:UNUSED_PAD src0_sel:DWORD src1_sel:WORD_1
	v_fmac_f16_e32 v106, v84, v90
	v_fma_f16 v84, v116, v90, -v109
	ds_read_u16 v90, v35 offset:3120
	v_mul_f16_sdwa v89, v80, v91 dst_sel:DWORD dst_unused:UNUSED_PAD src0_sel:DWORD src1_sel:WORD_1
	v_fmac_f16_e32 v82, v80, v91
	s_waitcnt vmcnt(6)
	v_mul_f16_sdwa v80, v110, v92 dst_sel:DWORD dst_unused:UNUSED_PAD src0_sel:DWORD src1_sel:WORD_1
	v_mul_f16_sdwa v107, v76, v92 dst_sel:DWORD dst_unused:UNUSED_PAD src0_sel:DWORD src1_sel:WORD_1
	v_fma_f16 v87, v87, v91, -v89
	s_waitcnt lgkmcnt(1)
	v_mul_f16_sdwa v89, v83, v93 dst_sel:DWORD dst_unused:UNUSED_PAD src0_sel:DWORD src1_sel:WORD_1
	v_mul_f16_sdwa v91, v77, v93 dst_sel:DWORD dst_unused:UNUSED_PAD src0_sel:DWORD src1_sel:WORD_1
	v_fmac_f16_e32 v80, v76, v92
	v_fma_f16 v76, v110, v92, -v107
	v_mul_f16_sdwa v92, v117, v94 dst_sel:DWORD dst_unused:UNUSED_PAD src0_sel:DWORD src1_sel:WORD_1
	v_mul_f16_sdwa v107, v105, v95 dst_sel:DWORD dst_unused:UNUSED_PAD src0_sel:DWORD src1_sel:WORD_1
	v_fmac_f16_e32 v89, v77, v93
	v_mul_f16_sdwa v77, v79, v94 dst_sel:DWORD dst_unused:UNUSED_PAD src0_sel:DWORD src1_sel:WORD_1
	v_fma_f16 v83, v83, v93, -v91
	v_fmac_f16_e32 v92, v79, v94
	v_mul_f16_sdwa v79, v78, v95 dst_sel:DWORD dst_unused:UNUSED_PAD src0_sel:DWORD src1_sel:WORD_1
	v_fmac_f16_e32 v107, v78, v95
	s_waitcnt vmcnt(5)
	v_mul_f16_sdwa v78, v111, v96 dst_sel:DWORD dst_unused:UNUSED_PAD src0_sel:DWORD src1_sel:WORD_1
	v_mul_f16_sdwa v91, v72, v96 dst_sel:DWORD dst_unused:UNUSED_PAD src0_sel:DWORD src1_sel:WORD_1
	v_fma_f16 v77, v117, v94, -v77
	s_waitcnt lgkmcnt(0)
	v_mul_f16_sdwa v93, v90, v97 dst_sel:DWORD dst_unused:UNUSED_PAD src0_sel:DWORD src1_sel:WORD_1
	v_mul_f16_sdwa v94, v70, v97 dst_sel:DWORD dst_unused:UNUSED_PAD src0_sel:DWORD src1_sel:WORD_1
	v_fmac_f16_e32 v78, v72, v96
	v_fma_f16 v72, v111, v96, -v91
	v_mul_f16_sdwa v91, v118, v98 dst_sel:DWORD dst_unused:UNUSED_PAD src0_sel:DWORD src1_sel:WORD_1
	v_fmac_f16_e32 v93, v70, v97
	v_fma_f16 v70, v90, v97, -v94
	v_mul_f16_sdwa v90, v75, v98 dst_sel:DWORD dst_unused:UNUSED_PAD src0_sel:DWORD src1_sel:WORD_1
	v_mul_f16_sdwa v94, v120, v99 dst_sel:DWORD dst_unused:UNUSED_PAD src0_sel:DWORD src1_sel:WORD_1
	v_fmac_f16_e32 v91, v75, v98
	ds_read_u16 v75, v35 offset:6720
	v_fma_f16 v79, v105, v95, -v79
	v_mul_f16_sdwa v95, v69, v99 dst_sel:DWORD dst_unused:UNUSED_PAD src0_sel:DWORD src1_sel:WORD_1
	s_waitcnt vmcnt(4)
	v_mul_f16_sdwa v96, v125, v63 dst_sel:DWORD dst_unused:UNUSED_PAD src0_sel:DWORD src1_sel:WORD_1
	v_fmac_f16_e32 v94, v69, v99
	v_mul_f16_sdwa v69, v74, v63 dst_sel:DWORD dst_unused:UNUSED_PAD src0_sel:DWORD src1_sel:WORD_1
	v_fma_f16 v90, v118, v98, -v90
	v_mul_f16_sdwa v97, v124, v104 dst_sel:DWORD dst_unused:UNUSED_PAD src0_sel:DWORD src1_sel:WORD_1
	v_mul_f16_sdwa v98, v73, v104 dst_sel:DWORD dst_unused:UNUSED_PAD src0_sel:DWORD src1_sel:WORD_1
	v_fmac_f16_e32 v96, v74, v63
	v_fma_f16 v63, v125, v63, -v69
	s_waitcnt vmcnt(3)
	v_mul_f16_sdwa v69, v108, v64 dst_sel:DWORD dst_unused:UNUSED_PAD src0_sel:DWORD src1_sel:WORD_1
	v_fma_f16 v95, v120, v99, -v95
	v_fmac_f16_e32 v97, v73, v104
	v_fma_f16 v73, v124, v104, -v98
	ds_read_u16 v98, v35 offset:6960
	ds_read_u16 v99, v38
	ds_read_u16 v104, v37
	;; [unrolled: 1-line block ×4, first 2 shown]
	v_mul_f16_sdwa v74, v54, v64 dst_sel:DWORD dst_unused:UNUSED_PAD src0_sel:DWORD src1_sel:WORD_1
	v_fmac_f16_e32 v69, v54, v64
	s_waitcnt vmcnt(2)
	v_mul_f16_sdwa v54, v57, v68 dst_sel:DWORD dst_unused:UNUSED_PAD src0_sel:DWORD src1_sel:WORD_1
	s_waitcnt vmcnt(0) lgkmcnt(0)
	v_mul_f16_sdwa v110, v75, v68 dst_sel:DWORD dst_unused:UNUSED_PAD src0_sel:DWORD src1_sel:WORD_1
	v_fma_f16 v64, v108, v64, -v74
	v_mul_f16_sdwa v74, v113, v100 dst_sel:DWORD dst_unused:UNUSED_PAD src0_sel:DWORD src1_sel:WORD_1
	v_fma_f16 v54, v75, v68, -v54
	v_mul_f16_sdwa v75, v119, v102 dst_sel:DWORD dst_unused:UNUSED_PAD src0_sel:DWORD src1_sel:WORD_1
	v_fmac_f16_e32 v110, v57, v68
	v_mul_f16_sdwa v57, v66, v100 dst_sel:DWORD dst_unused:UNUSED_PAD src0_sel:DWORD src1_sel:WORD_1
	v_mul_f16_sdwa v68, v122, v101 dst_sel:DWORD dst_unused:UNUSED_PAD src0_sel:DWORD src1_sel:WORD_1
	v_fmac_f16_e32 v74, v66, v100
	v_mul_f16_sdwa v66, v67, v101 dst_sel:DWORD dst_unused:UNUSED_PAD src0_sel:DWORD src1_sel:WORD_1
	v_fmac_f16_e32 v75, v56, v102
	v_fma_f16 v57, v113, v100, -v57
	v_fmac_f16_e32 v68, v67, v101
	v_mul_f16_sdwa v67, v56, v102 dst_sel:DWORD dst_unused:UNUSED_PAD src0_sel:DWORD src1_sel:WORD_1
	v_mul_f16_sdwa v100, v121, v103 dst_sel:DWORD dst_unused:UNUSED_PAD src0_sel:DWORD src1_sel:WORD_1
	v_fma_f16 v66, v122, v101, -v66
	v_mul_f16_sdwa v56, v58, v103 dst_sel:DWORD dst_unused:UNUSED_PAD src0_sel:DWORD src1_sel:WORD_1
	v_mul_f16_sdwa v101, v98, v65 dst_sel:DWORD dst_unused:UNUSED_PAD src0_sel:DWORD src1_sel:WORD_1
	v_fma_f16 v67, v119, v102, -v67
	v_fmac_f16_e32 v100, v58, v103
	v_mul_f16_sdwa v58, v55, v65 dst_sel:DWORD dst_unused:UNUSED_PAD src0_sel:DWORD src1_sel:WORD_1
	v_add_f16_e32 v102, v85, v126
	v_fmac_f16_e32 v101, v55, v65
	v_add_f16_e32 v55, v53, v85
	v_fma_f16 v56, v121, v103, -v56
	v_fma_f16 v58, v98, v65, -v58
	v_add_f16_e32 v65, v60, v62
	v_fmac_f16_e32 v53, -0.5, v102
	v_sub_f16_e32 v98, v60, v62
	v_add_f16_e32 v60, v114, v60
	v_add_f16_e32 v102, v123, v96
	v_fmac_f16_e32 v114, -0.5, v65
	v_sub_f16_e32 v65, v85, v126
	v_fmamk_f16 v85, v98, 0xbaee, v53
	v_fmac_f16_e32 v53, 0x3aee, v98
	v_add_f16_e32 v98, v61, v63
	v_add_f16_e32 v103, v59, v61
	;; [unrolled: 1-line block ×3, first 2 shown]
	v_fmamk_f16 v62, v65, 0x3aee, v114
	v_add_f16_e32 v108, v115, v123
	v_fmac_f16_e32 v59, -0.5, v98
	v_sub_f16_e32 v98, v123, v96
	v_fmac_f16_e32 v115, -0.5, v102
	v_sub_f16_e32 v61, v61, v63
	v_fmac_f16_e32 v114, 0xbaee, v65
	v_add_f16_e32 v63, v103, v63
	v_fmamk_f16 v65, v98, 0x3aee, v59
	v_fmac_f16_e32 v59, 0xbaee, v98
	v_fmamk_f16 v98, v61, 0xbaee, v115
	v_fmac_f16_e32 v115, 0x3aee, v61
	v_add_f16_e32 v55, v55, v126
	v_mul_f16_e32 v61, 0xbaee, v65
	v_mul_f16_e32 v65, 0.5, v65
	v_add_f16_e32 v96, v108, v96
	v_mul_f16_e32 v102, 0xbaee, v59
	v_mul_f16_e32 v59, -0.5, v59
	v_fmac_f16_e32 v61, 0.5, v98
	v_fmac_f16_e32 v65, 0x3aee, v98
	v_add_f16_e32 v111, v60, v63
	v_fmac_f16_e32 v102, -0.5, v115
	v_add_f16_e32 v103, v55, v96
	v_add_f16_e32 v98, v85, v61
	v_sub_f16_e32 v61, v85, v61
	v_sub_f16_e32 v85, v60, v63
	v_add_f16_e32 v60, v81, v82
	v_fmac_f16_e32 v59, 0x3aee, v115
	v_add_f16_e32 v112, v62, v65
	v_sub_f16_e32 v55, v55, v96
	v_sub_f16_e32 v96, v62, v65
	v_add_f16_e32 v62, v52, v81
	v_fmac_f16_e32 v52, -0.5, v60
	v_sub_f16_e32 v60, v86, v87
	v_add_f16_e32 v108, v53, v102
	v_add_f16_e32 v113, v114, v59
	v_sub_f16_e32 v53, v53, v102
	v_sub_f16_e32 v102, v114, v59
	v_add_f16_e32 v59, v86, v87
	v_fmamk_f16 v65, v60, 0xbaee, v52
	v_fmac_f16_e32 v52, 0x3aee, v60
	v_add_f16_e32 v60, v84, v73
	v_add_f16_e32 v62, v62, v82
	;; [unrolled: 1-line block ×3, first 2 shown]
	v_fmac_f16_e32 v104, -0.5, v59
	v_sub_f16_e32 v59, v81, v82
	v_add_f16_e32 v82, v106, v97
	v_add_f16_e32 v86, v88, v84
	v_fmac_f16_e32 v88, -0.5, v60
	v_sub_f16_e32 v60, v106, v97
	v_add_f16_e32 v63, v63, v87
	v_fmamk_f16 v81, v59, 0x3aee, v104
	v_add_f16_e32 v87, v71, v106
	v_fmac_f16_e32 v71, -0.5, v82
	v_sub_f16_e32 v82, v84, v73
	v_fmac_f16_e32 v104, 0xbaee, v59
	v_fmamk_f16 v59, v60, 0x3aee, v88
	v_fmac_f16_e32 v88, 0xbaee, v60
	v_add_f16_e32 v73, v86, v73
	v_fmamk_f16 v84, v82, 0xbaee, v71
	v_fmac_f16_e32 v71, 0x3aee, v82
	v_mul_f16_e32 v82, 0xbaee, v59
	v_mul_f16_e32 v59, 0.5, v59
	v_add_f16_e32 v60, v87, v97
	v_mul_f16_e32 v86, -0.5, v88
	v_add_f16_e32 v97, v63, v73
	v_sub_f16_e32 v73, v63, v73
	v_fmac_f16_e32 v59, 0x3aee, v84
	v_add_f16_e32 v63, v89, v107
	v_mul_f16_e32 v87, 0xbaee, v88
	v_fmac_f16_e32 v82, 0.5, v84
	v_fmac_f16_e32 v86, 0x3aee, v71
	v_add_f16_e32 v106, v81, v59
	v_sub_f16_e32 v81, v81, v59
	v_add_f16_e32 v59, v46, v89
	v_fmac_f16_e32 v46, -0.5, v63
	v_sub_f16_e32 v63, v83, v79
	v_fmac_f16_e32 v87, -0.5, v71
	v_add_f16_e32 v88, v62, v60
	v_add_f16_e32 v71, v65, v82
	;; [unrolled: 1-line block ×3, first 2 shown]
	v_sub_f16_e32 v60, v62, v60
	v_sub_f16_e32 v62, v65, v82
	;; [unrolled: 1-line block ×3, first 2 shown]
	v_add_f16_e32 v65, v83, v79
	v_fmamk_f16 v86, v63, 0xbaee, v46
	v_fmac_f16_e32 v46, 0x3aee, v63
	v_add_f16_e32 v63, v77, v64
	v_add_f16_e32 v84, v52, v87
	v_sub_f16_e32 v52, v52, v87
	v_add_f16_e32 v83, v99, v83
	v_fmac_f16_e32 v99, -0.5, v65
	v_sub_f16_e32 v65, v89, v107
	v_add_f16_e32 v87, v92, v69
	v_add_f16_e32 v89, v76, v77
	v_fmac_f16_e32 v76, -0.5, v63
	v_sub_f16_e32 v63, v92, v69
	v_add_f16_e32 v79, v83, v79
	v_fmamk_f16 v83, v65, 0x3aee, v99
	v_add_f16_e32 v92, v80, v92
	v_fmac_f16_e32 v80, -0.5, v87
	v_sub_f16_e32 v77, v77, v64
	v_fmac_f16_e32 v99, 0xbaee, v65
	v_fmamk_f16 v65, v63, 0x3aee, v76
	v_fmac_f16_e32 v76, 0xbaee, v63
	v_add_f16_e32 v63, v92, v69
	v_fmamk_f16 v69, v77, 0xbaee, v80
	v_fmac_f16_e32 v80, 0x3aee, v77
	v_mul_f16_e32 v77, 0xbaee, v65
	v_add_f16_e32 v59, v59, v107
	v_add_f16_e32 v64, v89, v64
	v_mul_f16_e32 v65, 0.5, v65
	v_mul_f16_e32 v87, 0xbaee, v76
	v_fmac_f16_e32 v77, 0.5, v69
	v_add_f16_e32 v89, v59, v63
	v_add_f16_e32 v92, v79, v64
	v_fmac_f16_e32 v65, 0x3aee, v69
	v_sub_f16_e32 v59, v59, v63
	v_add_f16_e32 v69, v86, v77
	v_sub_f16_e32 v63, v86, v77
	v_sub_f16_e32 v77, v79, v64
	v_add_f16_e32 v64, v93, v94
	v_add_f16_e32 v104, v83, v65
	v_sub_f16_e32 v79, v83, v65
	v_add_f16_e32 v65, v44, v93
	v_add_f16_e32 v83, v70, v95
	v_fmac_f16_e32 v44, -0.5, v64
	v_sub_f16_e32 v64, v70, v95
	v_mul_f16_e32 v76, -0.5, v76
	v_fmac_f16_e32 v87, -0.5, v80
	v_add_f16_e32 v65, v65, v94
	v_add_f16_e32 v70, v109, v70
	v_fmamk_f16 v86, v64, 0xbaee, v44
	v_fmac_f16_e32 v44, 0x3aee, v64
	v_add_f16_e32 v64, v90, v54
	v_fmac_f16_e32 v109, -0.5, v83
	v_sub_f16_e32 v83, v93, v94
	v_add_f16_e32 v93, v91, v110
	v_add_f16_e32 v94, v72, v90
	v_fmac_f16_e32 v72, -0.5, v64
	v_sub_f16_e32 v64, v91, v110
	v_fmac_f16_e32 v76, 0x3aee, v80
	v_add_f16_e32 v80, v46, v87
	v_sub_f16_e32 v46, v46, v87
	v_fmamk_f16 v87, v83, 0x3aee, v109
	v_add_f16_e32 v91, v78, v91
	v_fmac_f16_e32 v78, -0.5, v93
	v_sub_f16_e32 v90, v90, v54
	v_fmac_f16_e32 v109, 0xbaee, v83
	v_fmamk_f16 v83, v64, 0x3aee, v72
	v_add_f16_e32 v70, v70, v95
	v_fmac_f16_e32 v72, 0xbaee, v64
	v_add_f16_e32 v64, v91, v110
	v_fmamk_f16 v91, v90, 0xbaee, v78
	v_fmac_f16_e32 v78, 0x3aee, v90
	v_mul_f16_e32 v90, 0xbaee, v83
	v_add_f16_e32 v54, v94, v54
	v_mul_f16_e32 v83, 0.5, v83
	v_mul_f16_e32 v93, 0xbaee, v72
	v_mul_f16_e32 v72, -0.5, v72
	v_fmac_f16_e32 v90, 0.5, v91
	v_add_f16_e32 v95, v70, v54
	v_fmac_f16_e32 v83, 0x3aee, v91
	v_sub_f16_e32 v70, v70, v54
	v_add_f16_e32 v54, v68, v100
	v_add_f16_e32 v107, v99, v76
	v_sub_f16_e32 v76, v99, v76
	v_fmac_f16_e32 v93, -0.5, v78
	v_add_f16_e32 v94, v65, v64
	v_fmac_f16_e32 v72, 0x3aee, v78
	v_add_f16_e32 v78, v86, v90
	v_add_f16_e32 v99, v87, v83
	v_sub_f16_e32 v64, v65, v64
	v_sub_f16_e32 v65, v86, v90
	;; [unrolled: 1-line block ×3, first 2 shown]
	v_add_f16_e32 v86, v41, v68
	v_add_f16_e32 v87, v66, v56
	v_fmac_f16_e32 v41, -0.5, v54
	v_sub_f16_e32 v54, v66, v56
	v_add_f16_e32 v66, v105, v66
	v_add_f16_e32 v91, v44, v93
	v_fmac_f16_e32 v105, -0.5, v87
	v_sub_f16_e32 v44, v44, v93
	v_fmamk_f16 v87, v54, 0xbaee, v41
	v_fmac_f16_e32 v41, 0x3aee, v54
	v_add_f16_e32 v54, v67, v58
	v_sub_f16_e32 v68, v68, v100
	v_add_f16_e32 v90, v75, v101
	v_add_f16_e32 v93, v57, v67
	;; [unrolled: 1-line block ×3, first 2 shown]
	v_fmac_f16_e32 v57, -0.5, v54
	v_sub_f16_e32 v54, v75, v101
	v_fmamk_f16 v66, v68, 0x3aee, v105
	v_add_f16_e32 v75, v74, v75
	v_fmac_f16_e32 v74, -0.5, v90
	v_sub_f16_e32 v67, v67, v58
	v_fmac_f16_e32 v105, 0xbaee, v68
	v_fmamk_f16 v68, v54, 0x3aee, v57
	v_fmac_f16_e32 v57, 0xbaee, v54
	v_add_f16_e32 v54, v75, v101
	v_fmamk_f16 v75, v67, 0xbaee, v74
	v_fmac_f16_e32 v74, 0x3aee, v67
	v_mul_f16_e32 v67, 0xbaee, v68
	v_mul_f16_e32 v90, 0xbaee, v57
	v_mul_f16_e32 v57, -0.5, v57
	v_add_f16_e32 v110, v109, v72
	v_sub_f16_e32 v72, v109, v72
	v_fmac_f16_e32 v67, 0.5, v75
	v_add_f16_e32 v86, v86, v100
	v_fmac_f16_e32 v57, 0x3aee, v74
	v_add_f16_e32 v58, v93, v58
	v_fmac_f16_e32 v90, -0.5, v74
	v_add_f16_e32 v74, v87, v67
	v_sub_f16_e32 v67, v87, v67
	v_add_f16_e32 v109, v105, v57
	v_sub_f16_e32 v87, v105, v57
	v_mov_b32_e32 v57, 0x4b0
	v_mul_f16_e32 v68, 0.5, v68
	v_add_f16_e32 v93, v86, v54
	v_add_f16_e32 v100, v56, v58
	v_sub_f16_e32 v54, v86, v54
	v_sub_f16_e32 v86, v56, v58
	v_cndmask_b32_e64 v56, 0, 0x4b0, s0
	v_mul_u32_u24_sdwa v2, v2, v57 dst_sel:DWORD dst_unused:UNUSED_PAD src0_sel:WORD_0 src1_sel:DWORD
	v_fmac_f16_e32 v68, 0x3aee, v75
	v_add_f16_e32 v75, v41, v90
	v_sub_f16_e32 v41, v41, v90
	v_add3_u32 v90, 0, v56, v42
	v_add3_u32 v2, 0, v2, v40
	v_mul_u32_u24_e32 v40, 0x4b0, v45
	v_lshlrev_b32_sdwa v42, v43, v48 dst_sel:DWORD dst_unused:UNUSED_PAD src0_sel:DWORD src1_sel:WORD_0
	s_barrier
	buffer_gl0_inv
	ds_write_b16 v90, v103
	ds_write_b16 v90, v98 offset:200
	ds_write_b16 v90, v108 offset:400
	ds_write_b16 v90, v55 offset:600
	ds_write_b16 v90, v61 offset:800
	ds_write_b16 v90, v53 offset:1000
	ds_write_b16 v2, v88
	ds_write_b16 v2, v71 offset:200
	ds_write_b16 v2, v84 offset:400
	;; [unrolled: 1-line block ×3, first 2 shown]
	v_add3_u32 v71, 0, v40, v42
	v_mul_u32_u24_e32 v40, 0x4b0, v47
	v_lshlrev_b32_sdwa v42, v43, v49 dst_sel:DWORD dst_unused:UNUSED_PAD src0_sel:DWORD src1_sel:WORD_0
	ds_write_b16 v2, v62 offset:800
	ds_write_b16 v2, v52 offset:1000
	ds_write_b16 v71, v89
	ds_write_b16 v71, v69 offset:200
	ds_write_b16 v71, v80 offset:400
	;; [unrolled: 1-line block ×3, first 2 shown]
	v_add_f16_e32 v101, v66, v68
	v_add3_u32 v69, 0, v40, v42
	v_mul_u32_u24_e32 v40, 0x4b0, v50
	v_lshlrev_b32_sdwa v42, v43, v51 dst_sel:DWORD dst_unused:UNUSED_PAD src0_sel:DWORD src1_sel:WORD_0
	ds_write_b16 v71, v63 offset:800
	ds_write_b16 v71, v46 offset:1000
	ds_write_b16 v69, v94
	ds_write_b16 v69, v78 offset:200
	v_sub_f16_e32 v68, v66, v68
	v_add3_u32 v78, 0, v40, v42
	ds_write_b16 v69, v91 offset:400
	ds_write_b16 v69, v64 offset:600
	;; [unrolled: 1-line block ×4, first 2 shown]
	ds_write_b16 v78, v93
	ds_write_b16 v78, v74 offset:200
	ds_write_b16 v78, v75 offset:400
	;; [unrolled: 1-line block ×5, first 2 shown]
	s_waitcnt lgkmcnt(0)
	s_barrier
	buffer_gl0_inv
	ds_read_u16 v46, v35 offset:6480
	ds_read_u16 v40, v35
	ds_read_u16 v58, v35 offset:1200
	ds_read_u16 v41, v35 offset:1440
	;; [unrolled: 1-line block ×23, first 2 shown]
	ds_read_u16 v38, v38
	ds_read_u16 v37, v37
	;; [unrolled: 1-line block ×4, first 2 shown]
	ds_read_u16 v64, v35 offset:6960
	s_waitcnt lgkmcnt(0)
	s_barrier
	buffer_gl0_inv
	ds_write_b16 v90, v111
	ds_write_b16 v90, v112 offset:200
	ds_write_b16 v90, v113 offset:400
	ds_write_b16 v90, v85 offset:600
	ds_write_b16 v90, v96 offset:800
	ds_write_b16 v90, v102 offset:1000
	ds_write_b16 v2, v97
	ds_write_b16 v2, v106 offset:200
	ds_write_b16 v2, v114 offset:400
	ds_write_b16 v2, v73 offset:600
	ds_write_b16 v2, v81 offset:800
	ds_write_b16 v2, v82 offset:1000
	;; [unrolled: 6-line block ×5, first 2 shown]
	s_waitcnt lgkmcnt(0)
	s_barrier
	buffer_gl0_inv
	s_and_saveexec_b32 s0, vcc_lo
	s_cbranch_execz .LBB0_15
; %bb.14:
	v_mul_u32_u24_e32 v2, 5, v26
	v_lshlrev_b32_e32 v68, 2, v2
	v_mul_i32_i24_e32 v2, 5, v32
	v_add_co_u32 v32, s0, s8, v68
	v_add_co_ci_u32_e64 v70, null, s9, 0, s0
	v_lshlrev_b64 v[68:69], 2, v[2:3]
	v_add_co_u32 v72, vcc_lo, 0x800, v32
	v_add_co_ci_u32_e32 v73, vcc_lo, 0, v70, vcc_lo
	v_add_co_u32 v2, vcc_lo, s8, v68
	v_add_co_ci_u32_e32 v32, vcc_lo, s9, v69, vcc_lo
	global_load_dwordx4 v[68:71], v[72:73], off offset:312
	v_add_co_u32 v76, vcc_lo, 0x800, v2
	v_mul_i32_i24_e32 v2, 5, v31
	v_add_co_ci_u32_e32 v77, vcc_lo, 0, v32, vcc_lo
	s_clause 0x1
	global_load_dword v88, v[72:73], off offset:328
	global_load_dwordx4 v[72:75], v[76:77], off offset:312
	v_lshlrev_b64 v[31:32], 2, v[2:3]
	global_load_dword v89, v[76:77], off offset:328
	v_add_co_u32 v2, vcc_lo, s8, v31
	v_add_co_ci_u32_e32 v32, vcc_lo, s9, v32, vcc_lo
	v_add_co_u32 v31, vcc_lo, 0x800, v2
	v_add_co_ci_u32_e32 v32, vcc_lo, 0, v32, vcc_lo
	v_mul_i32_i24_e32 v2, 5, v30
	s_clause 0x1
	global_load_dwordx4 v[76:79], v[31:32], off offset:312
	global_load_dword v90, v[31:32], off offset:328
	v_mul_i32_i24_e32 v30, 0xffffffee, v30
	v_lshlrev_b64 v[31:32], 2, v[2:3]
	v_add_nc_u32_e32 v30, v34, v30
	v_add_co_u32 v2, vcc_lo, s8, v31
	v_add_co_ci_u32_e32 v32, vcc_lo, s9, v32, vcc_lo
	v_add_co_u32 v31, vcc_lo, 0x800, v2
	v_mul_i32_i24_e32 v2, 5, v29
	v_add_co_ci_u32_e32 v32, vcc_lo, 0, v32, vcc_lo
	s_clause 0x1
	global_load_dwordx4 v[80:83], v[31:32], off offset:312
	global_load_dword v31, v[31:32], off offset:328
	v_lshlrev_b64 v[2:3], 2, v[2:3]
	v_mul_i32_i24_e32 v29, 0xffffffee, v29
	v_add_co_u32 v2, vcc_lo, s8, v2
	v_add_co_ci_u32_e32 v3, vcc_lo, s9, v3, vcc_lo
	v_add_nc_u32_e32 v29, v33, v29
	v_add_co_u32 v2, vcc_lo, 0x800, v2
	v_add_co_ci_u32_e32 v3, vcc_lo, 0, v3, vcc_lo
	s_clause 0x1
	global_load_dwordx4 v[84:87], v[2:3], off offset:312
	global_load_dword v32, v[2:3], off offset:328
	ds_read_u16 v2, v35 offset:3360
	ds_read_u16 v91, v35 offset:6240
	;; [unrolled: 1-line block ×21, first 2 shown]
	ds_read_u16 v110, v35
	ds_read_u16 v33, v39
	;; [unrolled: 1-line block ×3, first 2 shown]
	ds_read_u16 v36, v35 offset:6960
	ds_read_u16 v39, v35 offset:6720
	;; [unrolled: 1-line block ×4, first 2 shown]
	ds_read_u16 v112, v30
	ds_read_u16 v113, v29
	v_add_co_u32 v0, vcc_lo, s12, v0
	v_add_co_ci_u32_e32 v1, vcc_lo, s13, v1, vcc_lo
	s_waitcnt vmcnt(9)
	v_mul_f16_sdwa v29, v65, v69 dst_sel:DWORD dst_unused:UNUSED_PAD src0_sel:DWORD src1_sel:WORD_1
	v_mul_f16_sdwa v30, v61, v71 dst_sel:DWORD dst_unused:UNUSED_PAD src0_sel:DWORD src1_sel:WORD_1
	s_waitcnt lgkmcnt(20)
	v_mul_f16_sdwa v114, v98, v69 dst_sel:DWORD dst_unused:UNUSED_PAD src0_sel:DWORD src1_sel:WORD_1
	v_mul_f16_sdwa v115, v96, v71 dst_sel:DWORD dst_unused:UNUSED_PAD src0_sel:DWORD src1_sel:WORD_1
	s_waitcnt lgkmcnt(15)
	v_mul_f16_sdwa v116, v68, v103 dst_sel:DWORD dst_unused:UNUSED_PAD src0_sel:WORD_1 src1_sel:DWORD
	s_waitcnt lgkmcnt(14)
	v_mul_f16_sdwa v117, v70, v104 dst_sel:DWORD dst_unused:UNUSED_PAD src0_sel:WORD_1 src1_sel:DWORD
	v_mul_f16_sdwa v119, v66, v70 dst_sel:DWORD dst_unused:UNUSED_PAD src0_sel:DWORD src1_sel:WORD_1
	s_waitcnt vmcnt(8)
	v_mul_f16_sdwa v118, v88, v3 dst_sel:DWORD dst_unused:UNUSED_PAD src0_sel:WORD_1 src1_sel:DWORD
	v_mul_f16_sdwa v120, v67, v88 dst_sel:DWORD dst_unused:UNUSED_PAD src0_sel:DWORD src1_sel:WORD_1
	v_mul_f16_sdwa v121, v58, v68 dst_sel:DWORD dst_unused:UNUSED_PAD src0_sel:DWORD src1_sel:WORD_1
	s_waitcnt vmcnt(7)
	v_mul_f16_sdwa v122, v62, v73 dst_sel:DWORD dst_unused:UNUSED_PAD src0_sel:DWORD src1_sel:WORD_1
	v_mul_f16_sdwa v123, v63, v75 dst_sel:DWORD dst_unused:UNUSED_PAD src0_sel:DWORD src1_sel:WORD_1
	v_fma_f16 v98, v69, v98, -v29
	v_mul_f16_sdwa v29, v2, v73 dst_sel:DWORD dst_unused:UNUSED_PAD src0_sel:DWORD src1_sel:WORD_1
	v_fma_f16 v96, v71, v96, -v30
	v_mul_f16_sdwa v30, v92, v75 dst_sel:DWORD dst_unused:UNUSED_PAD src0_sel:DWORD src1_sel:WORD_1
	v_fmac_f16_e32 v114, v65, v69
	v_mul_f16_sdwa v65, v72, v99 dst_sel:DWORD dst_unused:UNUSED_PAD src0_sel:WORD_1 src1_sel:DWORD
	v_fmac_f16_e32 v115, v61, v71
	s_waitcnt lgkmcnt(13)
	v_mul_f16_sdwa v61, v74, v105 dst_sel:DWORD dst_unused:UNUSED_PAD src0_sel:WORD_1 src1_sel:DWORD
	v_fmac_f16_e32 v116, v58, v68
	s_waitcnt vmcnt(6) lgkmcnt(5)
	v_mul_f16_sdwa v58, v89, v36 dst_sel:DWORD dst_unused:UNUSED_PAD src0_sel:WORD_1 src1_sel:DWORD
	v_fmac_f16_e32 v117, v66, v70
	v_mul_f16_sdwa v66, v60, v74 dst_sel:DWORD dst_unused:UNUSED_PAD src0_sel:DWORD src1_sel:WORD_1
	v_fmac_f16_e32 v118, v67, v88
	v_mul_f16_sdwa v67, v64, v89 dst_sel:DWORD dst_unused:UNUSED_PAD src0_sel:DWORD src1_sel:WORD_1
	v_fma_f16 v69, v70, v104, -v119
	v_mul_f16_sdwa v70, v59, v72 dst_sel:DWORD dst_unused:UNUSED_PAD src0_sel:DWORD src1_sel:WORD_1
	v_fma_f16 v71, v88, v3, -v120
	v_fma_f16 v2, v73, v2, -v122
	;; [unrolled: 1-line block ×3, first 2 shown]
	v_fmac_f16_e32 v29, v62, v73
	v_fmac_f16_e32 v30, v63, v75
	;; [unrolled: 1-line block ×5, first 2 shown]
	v_fma_f16 v59, v74, v105, -v66
	v_fma_f16 v36, v89, v36, -v67
	;; [unrolled: 1-line block ×3, first 2 shown]
	s_waitcnt vmcnt(5)
	v_mul_f16_sdwa v62, v54, v77 dst_sel:DWORD dst_unused:UNUSED_PAD src0_sel:DWORD src1_sel:WORD_1
	v_mul_f16_sdwa v63, v56, v79 dst_sel:DWORD dst_unused:UNUSED_PAD src0_sel:DWORD src1_sel:WORD_1
	s_waitcnt lgkmcnt(3)
	v_mul_f16_sdwa v64, v111, v77 dst_sel:DWORD dst_unused:UNUSED_PAD src0_sel:DWORD src1_sel:WORD_1
	v_mul_f16_sdwa v66, v93, v79 dst_sel:DWORD dst_unused:UNUSED_PAD src0_sel:DWORD src1_sel:WORD_1
	v_mul_f16_sdwa v67, v76, v100 dst_sel:DWORD dst_unused:UNUSED_PAD src0_sel:WORD_1 src1_sel:DWORD
	v_mul_f16_sdwa v70, v78, v106 dst_sel:DWORD dst_unused:UNUSED_PAD src0_sel:WORD_1 src1_sel:DWORD
	s_waitcnt vmcnt(4)
	v_mul_f16_sdwa v72, v90, v39 dst_sel:DWORD dst_unused:UNUSED_PAD src0_sel:WORD_1 src1_sel:DWORD
	v_mul_f16_sdwa v73, v57, v78 dst_sel:DWORD dst_unused:UNUSED_PAD src0_sel:DWORD src1_sel:WORD_1
	v_mul_f16_sdwa v74, v55, v90 dst_sel:DWORD dst_unused:UNUSED_PAD src0_sel:DWORD src1_sel:WORD_1
	v_mul_f16_sdwa v75, v52, v76 dst_sel:DWORD dst_unused:UNUSED_PAD src0_sel:DWORD src1_sel:WORD_1
	v_fma_f16 v68, v68, v103, -v121
	v_add_f16_e32 v88, v98, v96
	v_add_f16_e32 v92, v117, v118
	;; [unrolled: 1-line block ×4, first 2 shown]
	v_sub_f16_e32 v119, v29, v30
	v_add_f16_e32 v120, v61, v58
	v_sub_f16_e32 v121, v59, v36
	v_add_f16_e32 v122, v59, v36
	v_sub_f16_e32 v123, v61, v58
	v_fma_f16 v62, v77, v111, -v62
	v_add_f16_e32 v111, v33, v2
	v_add_f16_e32 v59, v60, v59
	v_fma_f16 v63, v79, v93, -v63
	v_add_f16_e32 v93, v29, v30
	v_sub_f16_e32 v124, v2, v3
	v_add_f16_e32 v2, v53, v29
	v_add_f16_e32 v29, v65, v61
	v_fmac_f16_e32 v64, v54, v77
	v_fmac_f16_e32 v66, v56, v79
	v_fmac_f16_e32 v67, v52, v76
	v_fmac_f16_e32 v70, v57, v78
	v_fmac_f16_e32 v72, v55, v90
	v_fma_f16 v52, v78, v106, -v73
	v_fma_f16 v39, v90, v39, -v74
	;; [unrolled: 1-line block ×3, first 2 shown]
	s_waitcnt vmcnt(3)
	v_mul_f16_sdwa v55, v49, v81 dst_sel:DWORD dst_unused:UNUSED_PAD src0_sel:DWORD src1_sel:WORD_1
	v_mul_f16_sdwa v56, v50, v83 dst_sel:DWORD dst_unused:UNUSED_PAD src0_sel:DWORD src1_sel:WORD_1
	s_waitcnt lgkmcnt(2)
	v_mul_f16_sdwa v57, v35, v81 dst_sel:DWORD dst_unused:UNUSED_PAD src0_sel:DWORD src1_sel:WORD_1
	v_mul_f16_sdwa v61, v94, v83 dst_sel:DWORD dst_unused:UNUSED_PAD src0_sel:DWORD src1_sel:WORD_1
	v_mul_f16_sdwa v73, v80, v101 dst_sel:DWORD dst_unused:UNUSED_PAD src0_sel:WORD_1 src1_sel:DWORD
	v_mul_f16_sdwa v74, v82, v107 dst_sel:DWORD dst_unused:UNUSED_PAD src0_sel:WORD_1 src1_sel:DWORD
	s_waitcnt vmcnt(2)
	v_mul_f16_sdwa v75, v31, v109 dst_sel:DWORD dst_unused:UNUSED_PAD src0_sel:WORD_1 src1_sel:DWORD
	v_mul_f16_sdwa v76, v51, v82 dst_sel:DWORD dst_unused:UNUSED_PAD src0_sel:DWORD src1_sel:WORD_1
	v_mul_f16_sdwa v77, v46, v31 dst_sel:DWORD dst_unused:UNUSED_PAD src0_sel:DWORD src1_sel:WORD_1
	;; [unrolled: 1-line block ×3, first 2 shown]
	v_fma_f16 v79, -0.5, v88, v110
	v_fma_f16 v88, -0.5, v92, v116
	;; [unrolled: 1-line block ×5, first 2 shown]
	v_add_f16_e32 v65, v111, v3
	v_add_f16_e32 v36, v59, v36
	v_fma_f16 v53, -0.5, v93, v53
	v_add_f16_e32 v30, v2, v30
	v_add_f16_e32 v58, v29, v58
	;; [unrolled: 1-line block ×3, first 2 shown]
	v_sub_f16_e32 v93, v64, v66
	v_add_f16_e32 v100, v70, v72
	v_sub_f16_e32 v103, v52, v39
	v_add_f16_e32 v105, v52, v39
	;; [unrolled: 2-line block ×3, first 2 shown]
	v_add_f16_e32 v52, v54, v52
	v_add_f16_e32 v120, v64, v66
	;; [unrolled: 1-line block ×4, first 2 shown]
	v_fma_f16 v35, v81, v35, -v55
	v_fma_f16 v55, v83, v94, -v56
	v_fmac_f16_e32 v57, v49, v81
	v_fmac_f16_e32 v61, v50, v83
	;; [unrolled: 1-line block ×5, first 2 shown]
	v_fma_f16 v46, v82, v107, -v76
	v_fma_f16 v31, v31, v109, -v77
	;; [unrolled: 1-line block ×3, first 2 shown]
	s_waitcnt vmcnt(1)
	v_mul_f16_sdwa v49, v43, v85 dst_sel:DWORD dst_unused:UNUSED_PAD src0_sel:DWORD src1_sel:WORD_1
	v_mul_f16_sdwa v50, v42, v87 dst_sel:DWORD dst_unused:UNUSED_PAD src0_sel:DWORD src1_sel:WORD_1
	;; [unrolled: 1-line block ×3, first 2 shown]
	v_mul_f16_sdwa v77, v86, v108 dst_sel:DWORD dst_unused:UNUSED_PAD src0_sel:WORD_1 src1_sel:DWORD
	s_waitcnt vmcnt(0)
	v_mul_f16_sdwa v78, v32, v91 dst_sel:DWORD dst_unused:UNUSED_PAD src0_sel:WORD_1 src1_sel:DWORD
	v_mul_f16_sdwa v80, v44, v86 dst_sel:DWORD dst_unused:UNUSED_PAD src0_sel:DWORD src1_sel:WORD_1
	v_mul_f16_sdwa v81, v45, v32 dst_sel:DWORD dst_unused:UNUSED_PAD src0_sel:DWORD src1_sel:WORD_1
	v_fma_f16 v60, -0.5, v122, v60
	v_sub_f16_e32 v62, v62, v63
	v_mul_f16_sdwa v51, v97, v85 dst_sel:DWORD dst_unused:UNUSED_PAD src0_sel:DWORD src1_sel:WORD_1
	v_mul_f16_sdwa v76, v84, v102 dst_sel:DWORD dst_unused:UNUSED_PAD src0_sel:WORD_1 src1_sel:DWORD
	v_mul_f16_sdwa v82, v41, v84 dst_sel:DWORD dst_unused:UNUSED_PAD src0_sel:DWORD src1_sel:WORD_1
	v_sub_f16_e32 v2, v65, v36
	v_sub_f16_e32 v3, v30, v58
	v_add_f16_e32 v29, v65, v36
	v_add_f16_e32 v30, v30, v58
	v_fma_f16 v58, -0.5, v59, v34
	v_fma_f16 v59, -0.5, v100, v67
	;; [unrolled: 1-line block ×3, first 2 shown]
	v_add_f16_e32 v36, v111, v63
	v_add_f16_e32 v52, v52, v39
	v_fma_f16 v54, -0.5, v120, v47
	v_add_f16_e32 v47, v64, v66
	v_add_f16_e32 v63, v70, v72
	;; [unrolled: 1-line block ×3, first 2 shown]
	v_sub_f16_e32 v65, v57, v61
	v_add_f16_e32 v66, v74, v75
	v_add_f16_e32 v70, v46, v31
	v_sub_f16_e32 v72, v74, v75
	s_waitcnt lgkmcnt(1)
	v_add_f16_e32 v100, v112, v35
	v_add_f16_e32 v111, v57, v61
	;; [unrolled: 1-line block ×4, first 2 shown]
	v_fma_f16 v49, v85, v97, -v49
	v_fma_f16 v50, v87, v95, -v50
	v_fmac_f16_e32 v56, v42, v87
	v_fmac_f16_e32 v77, v44, v86
	;; [unrolled: 1-line block ×3, first 2 shown]
	v_fma_f16 v42, v86, v108, -v80
	v_fma_f16 v32, v32, v91, -v81
	v_fmamk_f16 v109, v123, 0xbaee, v60
	v_sub_f16_e32 v67, v46, v31
	v_add_f16_e32 v105, v48, v46
	v_sub_f16_e32 v35, v35, v55
	v_fmac_f16_e32 v51, v43, v85
	v_fmac_f16_e32 v76, v41, v84
	v_fma_f16 v43, v84, v102, -v82
	v_fmamk_f16 v85, v106, 0xbaee, v34
	v_fmac_f16_e32 v34, 0x3aee, v106
	v_sub_f16_e32 v39, v36, v52
	v_add_f16_e32 v46, v36, v52
	v_fma_f16 v52, -0.5, v64, v112
	v_fma_f16 v48, -0.5, v70, v48
	v_add_f16_e32 v36, v100, v55
	v_fma_f16 v55, -0.5, v111, v38
	v_add_f16_e32 v38, v57, v61
	v_add_f16_e32 v57, v74, v75
	;; [unrolled: 1-line block ×5, first 2 shown]
	v_fmamk_f16 v107, v121, 0x3aee, v33
	v_fmac_f16_e32 v60, 0x3aee, v123
	v_mul_f16_e32 v44, -0.5, v109
	v_mul_f16_e32 v81, 0xbaee, v109
	v_fmamk_f16 v82, v93, 0xbaee, v58
	v_fmamk_f16 v84, v103, 0x3aee, v59
	v_fmac_f16_e32 v58, 0x3aee, v93
	v_fmac_f16_e32 v59, 0xbaee, v103
	v_fmamk_f16 v86, v62, 0x3aee, v54
	v_fmac_f16_e32 v54, 0xbaee, v62
	v_sub_f16_e32 v41, v47, v63
	v_add_f16_e32 v47, v47, v63
	v_fma_f16 v62, -0.5, v66, v73
	v_sub_f16_e32 v63, v51, v56
	v_sub_f16_e32 v73, v77, v78
	s_waitcnt lgkmcnt(0)
	v_add_f16_e32 v74, v113, v49
	v_add_f16_e32 v75, v51, v56
	;; [unrolled: 1-line block ×4, first 2 shown]
	v_mul_f16_e32 v91, 0.5, v34
	v_mul_f16_e32 v93, 0xbaee, v34
	v_fmamk_f16 v100, v72, 0xbaee, v48
	v_fmac_f16_e32 v48, 0x3aee, v72
	v_sub_f16_e32 v72, v38, v57
	v_add_f16_e32 v103, v38, v57
	v_fma_f16 v57, -0.5, v61, v113
	v_fma_f16 v61, -0.5, v64, v76
	;; [unrolled: 1-line block ×3, first 2 shown]
	v_fmamk_f16 v101, v119, 0xbaee, v92
	v_fmac_f16_e32 v92, 0x3aee, v119
	v_fmac_f16_e32 v33, 0xbaee, v121
	v_fmamk_f16 v119, v124, 0x3aee, v53
	v_mul_f16_e32 v45, 0.5, v60
	v_mul_f16_e32 v60, 0xbaee, v60
	v_add_f16_e32 v31, v105, v31
	v_sub_f16_e32 v66, v42, v32
	v_add_f16_e32 v42, v43, v42
	v_sub_f16_e32 v49, v49, v50
	v_fmac_f16_e32 v44, 0x3aee, v107
	v_fmac_f16_e32 v81, -0.5, v107
	v_fmamk_f16 v97, v67, 0x3aee, v62
	v_fmac_f16_e32 v62, 0xbaee, v67
	v_add_f16_e32 v50, v74, v50
	v_fma_f16 v74, -0.5, v75, v37
	v_add_f16_e32 v51, v51, v56
	v_add_f16_e32 v56, v77, v78
	v_fmac_f16_e32 v91, 0x3aee, v59
	v_fmac_f16_e32 v93, 0.5, v59
	v_mul_f16_e32 v59, 0.5, v48
	v_mul_f16_e32 v75, 0xbaee, v48
	v_fmamk_f16 v78, v73, 0xbaee, v64
	v_fmac_f16_e32 v64, 0x3aee, v73
	v_fmac_f16_e32 v53, 0xbaee, v124
	v_fmac_f16_e32 v60, 0.5, v33
	v_mul_f16_e32 v87, -0.5, v85
	v_fmamk_f16 v95, v65, 0xbaee, v52
	v_fmac_f16_e32 v52, 0x3aee, v65
	v_sub_f16_e32 v65, v36, v31
	v_fmamk_f16 v67, v35, 0x3aee, v55
	v_fmac_f16_e32 v55, 0xbaee, v35
	v_add_f16_e32 v102, v36, v31
	v_add_f16_e32 v70, v42, v32
	v_sub_f16_e32 v31, v101, v44
	v_sub_f16_e32 v32, v119, v81
	v_add_f16_e32 v35, v101, v44
	v_add_f16_e32 v36, v119, v81
	v_fmamk_f16 v77, v66, 0x3aee, v61
	v_fmac_f16_e32 v61, 0xbaee, v66
	v_sub_f16_e32 v44, v58, v91
	v_add_f16_e32 v81, v58, v91
	v_fmac_f16_e32 v59, 0x3aee, v62
	v_fmac_f16_e32 v75, 0.5, v62
	v_mul_f16_e32 v58, 0.5, v64
	v_mul_f16_e32 v62, 0xbaee, v78
	v_fmac_f16_e32 v45, 0x3aee, v33
	v_mul_f16_e32 v85, 0xbaee, v85
	v_sub_f16_e32 v34, v53, v60
	v_add_f16_e32 v38, v53, v60
	v_fmac_f16_e32 v87, 0x3aee, v84
	v_mul_f16_e32 v53, -0.5, v100
	v_mul_f16_e32 v60, 0xbaee, v100
	v_fmamk_f16 v76, v63, 0xbaee, v57
	v_fmac_f16_e32 v57, 0x3aee, v63
	v_sub_f16_e32 v63, v50, v70
	v_fmamk_f16 v66, v49, 0x3aee, v74
	v_fmac_f16_e32 v58, 0x3aee, v61
	v_fmac_f16_e32 v62, -0.5, v77
	v_add_f16_e32 v70, v50, v70
	v_add_f16_e32 v50, v114, v115
	v_sub_f16_e32 v104, v117, v118
	v_sub_f16_e32 v33, v92, v45
	v_add_f16_e32 v37, v92, v45
	v_fmac_f16_e32 v85, -0.5, v84
	v_sub_f16_e32 v73, v51, v56
	v_sub_f16_e32 v42, v82, v87
	;; [unrolled: 1-line block ×3, first 2 shown]
	v_add_f16_e32 v48, v82, v87
	v_add_f16_e32 v82, v54, v93
	v_fmac_f16_e32 v53, 0x3aee, v97
	v_fmac_f16_e32 v60, -0.5, v97
	v_sub_f16_e32 v92, v57, v58
	v_sub_f16_e32 v93, v66, v62
	v_add_f16_e32 v97, v57, v58
	v_add_f16_e32 v62, v66, v62
	;; [unrolled: 1-line block ×4, first 2 shown]
	v_fma_f16 v57, -0.5, v50, v40
	v_sub_f16_e32 v50, v98, v96
	v_sub_f16_e32 v99, v69, v71
	v_fmamk_f16 v94, v104, 0xbaee, v90
	v_mul_f16_e32 v54, -0.5, v78
	v_fmac_f16_e32 v90, 0x3aee, v104
	v_sub_f16_e32 v84, v52, v59
	v_add_f16_e32 v91, v52, v59
	v_add_f16_e32 v52, v68, v69
	v_fmac_f16_e32 v74, 0xbaee, v49
	v_sub_f16_e32 v43, v86, v85
	v_add_f16_e32 v49, v86, v85
	v_sub_f16_e32 v85, v67, v60
	v_add_f16_e32 v67, v67, v60
	v_add_f16_e32 v56, v51, v96
	v_fmamk_f16 v60, v50, 0x3aee, v57
	v_fmac_f16_e32 v57, 0xbaee, v50
	v_mad_u64_u32 v[50:51], null, s2, v26, 0
	v_sub_f16_e32 v89, v114, v115
	v_fmamk_f16 v83, v99, 0x3aee, v88
	v_mul_f16_e32 v80, -0.5, v94
	v_mul_f16_e32 v64, 0xbaee, v64
	v_sub_f16_e32 v86, v55, v75
	v_fmac_f16_e32 v54, 0x3aee, v77
	v_add_f16_e32 v75, v55, v75
	v_fmac_f16_e32 v88, 0xbaee, v99
	v_mul_f16_e32 v55, 0.5, v90
	v_add_f16_e32 v40, v40, v114
	v_add_f16_e32 v59, v52, v71
	;; [unrolled: 1-line block ×3, first 2 shown]
	v_fmac_f16_e32 v64, 0.5, v61
	v_sub_f16_e32 v77, v76, v54
	v_add_f16_e32 v76, v76, v54
	v_fmamk_f16 v54, v89, 0xbaee, v79
	v_fmac_f16_e32 v80, 0x3aee, v83
	v_fmac_f16_e32 v79, 0x3aee, v89
	;; [unrolled: 1-line block ×3, first 2 shown]
	v_add_f16_e32 v68, v40, v115
	v_mov_b32_e32 v40, v51
	v_sub_f16_e32 v78, v95, v53
	v_add_f16_e32 v87, v95, v53
	v_mul_f16_e32 v58, 0xbaee, v94
	v_add_f16_e32 v69, v52, v118
	v_mad_u64_u32 v[52:53], null, s2, v28, 0
	v_mul_f16_e32 v61, 0xbaee, v90
	v_sub_f16_e32 v95, v74, v64
	v_add_f16_e32 v64, v74, v64
	v_sub_f16_e32 v74, v54, v80
	v_sub_f16_e32 v71, v79, v55
	v_add_f16_e32 v80, v54, v80
	v_add_f16_e32 v79, v79, v55
	v_mad_u64_u32 v[54:55], null, s3, v26, v[40:41]
	v_fmac_f16_e32 v58, -0.5, v83
	v_sub_f16_e32 v83, v56, v59
	v_add_f16_e32 v59, v56, v59
	v_mad_u64_u32 v[55:56], null, s2, v27, 0
	v_fmac_f16_e32 v61, 0.5, v88
	v_mov_b32_e32 v26, v53
	v_sub_f16_e32 v88, v60, v58
	v_add_f16_e32 v40, v60, v58
	v_mov_b32_e32 v51, v54
	v_sub_f16_e32 v89, v57, v61
	v_add_f16_e32 v60, v57, v61
	v_mad_u64_u32 v[57:58], null, s3, v28, v[26:27]
	v_mov_b32_e32 v26, v56
	v_lshlrev_b64 v[50:51], 2, v[50:51]
	v_add_f16_e32 v61, v68, v69
	v_sub_f16_e32 v90, v68, v69
	v_pack_b32_f16 v69, v60, v79
	v_mad_u64_u32 v[26:27], null, s3, v27, v[26:27]
	v_mad_u64_u32 v[27:28], null, s2, v24, 0
	v_mov_b32_e32 v53, v57
	v_mad_u64_u32 v[57:58], null, s2, v25, 0
	v_add_co_u32 v50, vcc_lo, v0, v50
	v_mov_b32_e32 v56, v26
	v_mov_b32_e32 v26, v28
	v_lshlrev_b64 v[52:53], 2, v[52:53]
	v_pack_b32_f16 v68, v61, v59
	v_add_co_ci_u32_e32 v51, vcc_lo, v1, v51, vcc_lo
	v_lshlrev_b64 v[54:55], 2, v[55:56]
	v_mad_u64_u32 v[59:60], null, s3, v24, v[26:27]
	v_add_co_u32 v52, vcc_lo, v0, v52
	v_add_co_ci_u32_e32 v53, vcc_lo, v1, v53, vcc_lo
	v_mov_b32_e32 v24, v58
	v_mad_u64_u32 v[60:61], null, s2, v23, 0
	v_add_co_u32 v54, vcc_lo, v0, v54
	v_add_co_ci_u32_e32 v55, vcc_lo, v1, v55, vcc_lo
	v_pack_b32_f16 v26, v40, v80
	v_mov_b32_e32 v28, v59
	v_mad_u64_u32 v[24:25], null, s3, v25, v[24:25]
	global_store_dword v[50:51], v68, off
	global_store_dword v[52:53], v69, off
	;; [unrolled: 1-line block ×3, first 2 shown]
	v_lshlrev_b64 v[26:27], 2, v[27:28]
	v_mov_b32_e32 v25, v61
	v_mad_u64_u32 v[52:53], null, s2, v21, 0
	v_mov_b32_e32 v58, v24
	v_pack_b32_f16 v28, v90, v83
	v_mad_u64_u32 v[23:24], null, s3, v23, v[25:26]
	v_mad_u64_u32 v[24:25], null, s2, v20, 0
	v_lshlrev_b64 v[50:51], 2, v[57:58]
	v_add_co_u32 v26, vcc_lo, v0, v26
	v_add_co_ci_u32_e32 v27, vcc_lo, v1, v27, vcc_lo
	v_mov_b32_e32 v61, v23
	v_mov_b32_e32 v23, v25
	v_add_co_u32 v50, vcc_lo, v0, v50
	v_add_co_ci_u32_e32 v51, vcc_lo, v1, v51, vcc_lo
	v_mad_u64_u32 v[56:57], null, s3, v20, v[23:24]
	v_lshlrev_b64 v[54:55], 2, v[60:61]
	v_mov_b32_e32 v20, v53
	v_mad_u64_u32 v[57:58], null, s2, v22, 0
	v_pack_b32_f16 v23, v88, v74
	v_pack_b32_f16 v40, v89, v71
	v_mad_u64_u32 v[20:21], null, s3, v21, v[20:21]
	v_add_co_u32 v53, vcc_lo, v0, v54
	v_add_co_ci_u32_e32 v54, vcc_lo, v1, v55, vcc_lo
	v_mov_b32_e32 v21, v58
	global_store_dword v[26:27], v28, off
	global_store_dword v[50:51], v40, off
	v_mov_b32_e32 v25, v56
	global_store_dword v[53:54], v23, off
	v_mov_b32_e32 v53, v20
	v_mad_u64_u32 v[20:21], null, s3, v22, v[21:22]
	v_mad_u64_u32 v[21:22], null, s2, v19, 0
	v_lshlrev_b64 v[23:24], 2, v[24:25]
	v_mad_u64_u32 v[27:28], null, s2, v17, 0
	v_lshlrev_b64 v[25:26], 2, v[52:53]
	v_mov_b32_e32 v58, v20
	v_mad_u64_u32 v[52:53], null, s2, v18, 0
	v_mov_b32_e32 v20, v22
	v_add_co_u32 v23, vcc_lo, v0, v23
	v_lshlrev_b64 v[50:51], 2, v[57:58]
	v_add_co_ci_u32_e32 v24, vcc_lo, v1, v24, vcc_lo
	v_mad_u64_u32 v[19:20], null, s3, v19, v[20:21]
	v_add_co_u32 v25, vcc_lo, v0, v25
	v_mov_b32_e32 v20, v28
	v_add_co_ci_u32_e32 v26, vcc_lo, v1, v26, vcc_lo
	v_add_co_u32 v50, vcc_lo, v0, v50
	v_pack_b32_f16 v40, v66, v70
	v_add_co_ci_u32_e32 v51, vcc_lo, v1, v51, vcc_lo
	v_mad_u64_u32 v[54:55], null, s3, v17, v[20:21]
	v_pack_b32_f16 v20, v62, v76
	v_mov_b32_e32 v22, v19
	v_mov_b32_e32 v17, v53
	v_pack_b32_f16 v56, v64, v97
	global_store_dword v[23:24], v40, off
	global_store_dword v[25:26], v56, off
	;; [unrolled: 1-line block ×3, first 2 shown]
	v_lshlrev_b64 v[19:20], 2, v[21:22]
	v_mad_u64_u32 v[17:18], null, s3, v18, v[17:18]
	v_mad_u64_u32 v[21:22], null, s2, v14, 0
	v_mov_b32_e32 v28, v54
	v_add_co_u32 v18, vcc_lo, v0, v19
	v_mad_u64_u32 v[25:26], null, s2, v16, 0
	v_mov_b32_e32 v53, v17
	v_mov_b32_e32 v17, v22
	v_lshlrev_b64 v[23:24], 2, v[27:28]
	v_add_co_ci_u32_e32 v19, vcc_lo, v1, v20, vcc_lo
	v_lshlrev_b64 v[27:28], 2, v[52:53]
	v_mad_u64_u32 v[50:51], null, s3, v14, v[17:18]
	v_mad_u64_u32 v[51:52], null, s2, v15, 0
	v_mov_b32_e32 v14, v26
	v_add_co_u32 v23, vcc_lo, v0, v23
	v_pack_b32_f16 v20, v73, v63
	v_add_co_ci_u32_e32 v24, vcc_lo, v1, v24, vcc_lo
	v_mad_u64_u32 v[16:17], null, s3, v16, v[14:15]
	v_mov_b32_e32 v14, v52
	v_pack_b32_f16 v40, v95, v92
	v_mov_b32_e32 v22, v50
	v_add_co_u32 v26, vcc_lo, v0, v27
	v_add_co_ci_u32_e32 v27, vcc_lo, v1, v28, vcc_lo
	v_pack_b32_f16 v28, v93, v77
	v_mad_u64_u32 v[14:15], null, s3, v15, v[14:15]
	global_store_dword v[18:19], v20, off
	global_store_dword v[23:24], v40, off
	v_mad_u64_u32 v[19:20], null, s2, v13, 0
	v_lshlrev_b64 v[17:18], 2, v[21:22]
	global_store_dword v[26:27], v28, off
	v_mov_b32_e32 v26, v16
	v_mov_b32_e32 v52, v14
	v_mad_u64_u32 v[22:23], null, s2, v12, 0
	v_add_co_u32 v15, vcc_lo, v0, v17
	v_mov_b32_e32 v14, v20
	v_add_co_ci_u32_e32 v16, vcc_lo, v1, v18, vcc_lo
	v_lshlrev_b64 v[17:18], 2, v[25:26]
	v_lshlrev_b64 v[20:21], 2, v[51:52]
	v_mad_u64_u32 v[13:14], null, s3, v13, v[14:15]
	v_pack_b32_f16 v28, v103, v102
	v_mov_b32_e32 v14, v23
	v_add_co_u32 v17, vcc_lo, v0, v17
	v_add_co_ci_u32_e32 v18, vcc_lo, v1, v18, vcc_lo
	v_add_co_u32 v24, vcc_lo, v0, v20
	v_mad_u64_u32 v[26:27], null, s2, v11, 0
	v_pack_b32_f16 v40, v75, v91
	v_add_co_ci_u32_e32 v25, vcc_lo, v1, v21, vcc_lo
	v_pack_b32_f16 v21, v67, v87
	v_mov_b32_e32 v20, v13
	v_mad_u64_u32 v[12:13], null, s3, v12, v[14:15]
	global_store_dword v[15:16], v28, off
	global_store_dword v[17:18], v40, off
	global_store_dword v[24:25], v21, off
	v_mad_u64_u32 v[16:17], null, s2, v9, 0
	v_lshlrev_b64 v[13:14], 2, v[19:20]
	v_mov_b32_e32 v15, v27
	v_mad_u64_u32 v[19:20], null, s2, v10, 0
	v_mov_b32_e32 v23, v12
	v_pack_b32_f16 v25, v72, v65
	v_mad_u64_u32 v[11:12], null, s3, v11, v[15:16]
	v_add_co_u32 v12, vcc_lo, v0, v13
	v_add_co_ci_u32_e32 v13, vcc_lo, v1, v14, vcc_lo
	v_mov_b32_e32 v14, v17
	v_lshlrev_b64 v[17:18], 2, v[22:23]
	v_mov_b32_e32 v27, v11
	v_pack_b32_f16 v11, v86, v84
	v_mad_u64_u32 v[14:15], null, s3, v9, v[14:15]
	v_mov_b32_e32 v9, v20
	v_add_co_u32 v21, vcc_lo, v0, v17
	v_lshlrev_b64 v[23:24], 2, v[26:27]
	v_add_co_ci_u32_e32 v22, vcc_lo, v1, v18, vcc_lo
	v_mov_b32_e32 v17, v14
	v_mad_u64_u32 v[14:15], null, s2, v8, 0
	v_mad_u64_u32 v[9:10], null, s3, v10, v[9:10]
	v_lshlrev_b64 v[16:17], 2, v[16:17]
	v_add_co_u32 v23, vcc_lo, v0, v23
	v_add_co_ci_u32_e32 v24, vcc_lo, v1, v24, vcc_lo
	v_mov_b32_e32 v10, v15
	v_mov_b32_e32 v20, v9
	v_add_co_u32 v15, vcc_lo, v0, v16
	v_pack_b32_f16 v18, v85, v78
	v_add_co_ci_u32_e32 v16, vcc_lo, v1, v17, vcc_lo
	v_pack_b32_f16 v17, v47, v46
	v_mad_u64_u32 v[8:9], null, s3, v8, v[10:11]
	global_store_dword v[12:13], v25, off
	global_store_dword v[21:22], v11, off
	global_store_dword v[23:24], v18, off
	global_store_dword v[15:16], v17, off
	v_lshlrev_b64 v[9:10], 2, v[19:20]
	v_mad_u64_u32 v[11:12], null, s2, v6, 0
	v_mad_u64_u32 v[16:17], null, s2, v7, 0
	v_mov_b32_e32 v15, v8
	v_add_co_u32 v8, vcc_lo, v0, v9
	v_add_co_ci_u32_e32 v9, vcc_lo, v1, v10, vcc_lo
	v_mov_b32_e32 v10, v12
	v_lshlrev_b64 v[12:13], 2, v[14:15]
	v_mov_b32_e32 v14, v17
	v_pack_b32_f16 v20, v82, v81
	v_mad_u64_u32 v[17:18], null, s3, v6, v[10:11]
	v_mad_u64_u32 v[18:19], null, s2, v5, 0
	;; [unrolled: 1-line block ×3, first 2 shown]
	v_mul_hi_u32 v10, 0x1b4e81b5, v4
	v_add_co_u32 v14, vcc_lo, v0, v12
	v_mov_b32_e32 v12, v17
	v_mov_b32_e32 v7, v19
	global_store_dword v[8:9], v20, off
	v_mov_b32_e32 v17, v6
	v_add_co_ci_u32_e32 v15, vcc_lo, v1, v13, vcc_lo
	v_mad_u64_u32 v[5:6], null, s3, v5, v[7:8]
	v_lshrrev_b32_e32 v10, 6, v10
	v_lshlrev_b64 v[6:7], 2, v[11:12]
	v_lshlrev_b64 v[8:9], 2, v[16:17]
	v_pack_b32_f16 v13, v49, v48
	v_pack_b32_f16 v17, v30, v29
	v_mad_u32_u24 v20, 0xbb8, v10, v4
	v_mov_b32_e32 v19, v5
	v_add_co_u32 v4, vcc_lo, v0, v6
	v_add_co_ci_u32_e32 v5, vcc_lo, v1, v7, vcc_lo
	v_mad_u64_u32 v[10:11], null, s2, v20, 0
	v_lshlrev_b64 v[6:7], 2, v[18:19]
	v_add_co_u32 v8, vcc_lo, v0, v8
	v_add_co_ci_u32_e32 v9, vcc_lo, v1, v9, vcc_lo
	global_store_dword v[14:15], v13, off
	v_add_co_u32 v6, vcc_lo, v0, v6
	v_pack_b32_f16 v13, v41, v39
	v_mad_u64_u32 v[11:12], null, s3, v20, v[11:12]
	v_add_co_ci_u32_e32 v7, vcc_lo, v1, v7, vcc_lo
	v_pack_b32_f16 v14, v43, v42
	v_pack_b32_f16 v12, v45, v44
	global_store_dword v[4:5], v13, off
	global_store_dword v[8:9], v12, off
	v_add_nc_u32_e32 v12, 0x258, v20
	global_store_dword v[6:7], v14, off
	v_add_nc_u32_e32 v14, 0x4b0, v20
	v_add_nc_u32_e32 v16, 0x708, v20
	v_lshlrev_b64 v[4:5], 2, v[10:11]
	v_mad_u64_u32 v[6:7], null, s2, v12, 0
	v_mad_u64_u32 v[8:9], null, s2, v14, 0
	v_mad_u64_u32 v[10:11], null, s2, v16, 0
	v_add_nc_u32_e32 v18, 0x960, v20
	v_add_co_u32 v4, vcc_lo, v0, v4
	v_add_co_ci_u32_e32 v5, vcc_lo, v1, v5, vcc_lo
	v_mad_u64_u32 v[12:13], null, s3, v12, v[7:8]
	v_mad_u64_u32 v[13:14], null, s3, v14, v[9:10]
	v_mov_b32_e32 v9, v11
	v_mad_u64_u32 v[14:15], null, s2, v18, 0
	global_store_dword v[4:5], v17, off
	v_mov_b32_e32 v7, v12
	v_mad_u64_u32 v[11:12], null, s3, v16, v[9:10]
	v_add_nc_u32_e32 v16, 0xbb8, v20
	v_mov_b32_e32 v9, v13
	v_lshlrev_b64 v[4:5], 2, v[6:7]
	v_mov_b32_e32 v6, v15
	v_mad_u64_u32 v[12:13], null, s2, v16, 0
	v_lshlrev_b64 v[8:9], 2, v[8:9]
	v_mad_u64_u32 v[6:7], null, s3, v18, v[6:7]
	v_add_co_u32 v4, vcc_lo, v0, v4
	v_add_co_ci_u32_e32 v5, vcc_lo, v1, v5, vcc_lo
	v_mov_b32_e32 v7, v13
	v_lshlrev_b64 v[10:11], 2, v[10:11]
	v_mov_b32_e32 v15, v6
	v_add_co_u32 v6, vcc_lo, v0, v8
	v_mad_u64_u32 v[16:17], null, s3, v16, v[7:8]
	v_add_co_ci_u32_e32 v7, vcc_lo, v1, v9, vcc_lo
	v_lshlrev_b64 v[8:9], 2, v[14:15]
	v_add_co_u32 v10, vcc_lo, v0, v10
	v_pack_b32_f16 v14, v3, v2
	v_mov_b32_e32 v13, v16
	v_add_co_ci_u32_e32 v11, vcc_lo, v1, v11, vcc_lo
	v_add_co_u32 v8, vcc_lo, v0, v8
	v_lshlrev_b64 v[2:3], 2, v[12:13]
	v_pack_b32_f16 v18, v38, v37
	v_pack_b32_f16 v17, v36, v35
	v_add_co_ci_u32_e32 v9, vcc_lo, v1, v9, vcc_lo
	v_pack_b32_f16 v12, v34, v33
	v_add_co_u32 v0, vcc_lo, v0, v2
	v_add_co_ci_u32_e32 v1, vcc_lo, v1, v3, vcc_lo
	v_pack_b32_f16 v2, v32, v31
	global_store_dword v[4:5], v18, off
	global_store_dword v[6:7], v17, off
	;; [unrolled: 1-line block ×5, first 2 shown]
.LBB0_15:
	s_endpgm
	.section	.rodata,"a",@progbits
	.p2align	6, 0x0
	.amdhsa_kernel fft_rtc_back_len3600_factors_10_10_6_6_wgs_120_tpt_120_halfLds_half_ip_CI_sbrr_dirReg
		.amdhsa_group_segment_fixed_size 0
		.amdhsa_private_segment_fixed_size 0
		.amdhsa_kernarg_size 88
		.amdhsa_user_sgpr_count 6
		.amdhsa_user_sgpr_private_segment_buffer 1
		.amdhsa_user_sgpr_dispatch_ptr 0
		.amdhsa_user_sgpr_queue_ptr 0
		.amdhsa_user_sgpr_kernarg_segment_ptr 1
		.amdhsa_user_sgpr_dispatch_id 0
		.amdhsa_user_sgpr_flat_scratch_init 0
		.amdhsa_user_sgpr_private_segment_size 0
		.amdhsa_wavefront_size32 1
		.amdhsa_uses_dynamic_stack 0
		.amdhsa_system_sgpr_private_segment_wavefront_offset 0
		.amdhsa_system_sgpr_workgroup_id_x 1
		.amdhsa_system_sgpr_workgroup_id_y 0
		.amdhsa_system_sgpr_workgroup_id_z 0
		.amdhsa_system_sgpr_workgroup_info 0
		.amdhsa_system_vgpr_workitem_id 0
		.amdhsa_next_free_vgpr 136
		.amdhsa_next_free_sgpr 23
		.amdhsa_reserve_vcc 1
		.amdhsa_reserve_flat_scratch 0
		.amdhsa_float_round_mode_32 0
		.amdhsa_float_round_mode_16_64 0
		.amdhsa_float_denorm_mode_32 3
		.amdhsa_float_denorm_mode_16_64 3
		.amdhsa_dx10_clamp 1
		.amdhsa_ieee_mode 1
		.amdhsa_fp16_overflow 0
		.amdhsa_workgroup_processor_mode 1
		.amdhsa_memory_ordered 1
		.amdhsa_forward_progress 0
		.amdhsa_shared_vgpr_count 0
		.amdhsa_exception_fp_ieee_invalid_op 0
		.amdhsa_exception_fp_denorm_src 0
		.amdhsa_exception_fp_ieee_div_zero 0
		.amdhsa_exception_fp_ieee_overflow 0
		.amdhsa_exception_fp_ieee_underflow 0
		.amdhsa_exception_fp_ieee_inexact 0
		.amdhsa_exception_int_div_zero 0
	.end_amdhsa_kernel
	.text
.Lfunc_end0:
	.size	fft_rtc_back_len3600_factors_10_10_6_6_wgs_120_tpt_120_halfLds_half_ip_CI_sbrr_dirReg, .Lfunc_end0-fft_rtc_back_len3600_factors_10_10_6_6_wgs_120_tpt_120_halfLds_half_ip_CI_sbrr_dirReg
                                        ; -- End function
	.section	.AMDGPU.csdata,"",@progbits
; Kernel info:
; codeLenInByte = 19436
; NumSgprs: 25
; NumVgprs: 136
; ScratchSize: 0
; MemoryBound: 0
; FloatMode: 240
; IeeeMode: 1
; LDSByteSize: 0 bytes/workgroup (compile time only)
; SGPRBlocks: 3
; VGPRBlocks: 16
; NumSGPRsForWavesPerEU: 25
; NumVGPRsForWavesPerEU: 136
; Occupancy: 7
; WaveLimiterHint : 1
; COMPUTE_PGM_RSRC2:SCRATCH_EN: 0
; COMPUTE_PGM_RSRC2:USER_SGPR: 6
; COMPUTE_PGM_RSRC2:TRAP_HANDLER: 0
; COMPUTE_PGM_RSRC2:TGID_X_EN: 1
; COMPUTE_PGM_RSRC2:TGID_Y_EN: 0
; COMPUTE_PGM_RSRC2:TGID_Z_EN: 0
; COMPUTE_PGM_RSRC2:TIDIG_COMP_CNT: 0
	.text
	.p2alignl 6, 3214868480
	.fill 48, 4, 3214868480
	.type	__hip_cuid_a5f0ae22ca5d2f3d,@object ; @__hip_cuid_a5f0ae22ca5d2f3d
	.section	.bss,"aw",@nobits
	.globl	__hip_cuid_a5f0ae22ca5d2f3d
__hip_cuid_a5f0ae22ca5d2f3d:
	.byte	0                               ; 0x0
	.size	__hip_cuid_a5f0ae22ca5d2f3d, 1

	.ident	"AMD clang version 19.0.0git (https://github.com/RadeonOpenCompute/llvm-project roc-6.4.0 25133 c7fe45cf4b819c5991fe208aaa96edf142730f1d)"
	.section	".note.GNU-stack","",@progbits
	.addrsig
	.addrsig_sym __hip_cuid_a5f0ae22ca5d2f3d
	.amdgpu_metadata
---
amdhsa.kernels:
  - .args:
      - .actual_access:  read_only
        .address_space:  global
        .offset:         0
        .size:           8
        .value_kind:     global_buffer
      - .offset:         8
        .size:           8
        .value_kind:     by_value
      - .actual_access:  read_only
        .address_space:  global
        .offset:         16
        .size:           8
        .value_kind:     global_buffer
      - .actual_access:  read_only
        .address_space:  global
        .offset:         24
        .size:           8
        .value_kind:     global_buffer
      - .offset:         32
        .size:           8
        .value_kind:     by_value
      - .actual_access:  read_only
        .address_space:  global
        .offset:         40
        .size:           8
        .value_kind:     global_buffer
      - .actual_access:  read_only
        .address_space:  global
        .offset:         48
        .size:           8
        .value_kind:     global_buffer
      - .offset:         56
        .size:           4
        .value_kind:     by_value
      - .actual_access:  read_only
        .address_space:  global
        .offset:         64
        .size:           8
        .value_kind:     global_buffer
      - .actual_access:  read_only
        .address_space:  global
        .offset:         72
        .size:           8
        .value_kind:     global_buffer
      - .address_space:  global
        .offset:         80
        .size:           8
        .value_kind:     global_buffer
    .group_segment_fixed_size: 0
    .kernarg_segment_align: 8
    .kernarg_segment_size: 88
    .language:       OpenCL C
    .language_version:
      - 2
      - 0
    .max_flat_workgroup_size: 120
    .name:           fft_rtc_back_len3600_factors_10_10_6_6_wgs_120_tpt_120_halfLds_half_ip_CI_sbrr_dirReg
    .private_segment_fixed_size: 0
    .sgpr_count:     25
    .sgpr_spill_count: 0
    .symbol:         fft_rtc_back_len3600_factors_10_10_6_6_wgs_120_tpt_120_halfLds_half_ip_CI_sbrr_dirReg.kd
    .uniform_work_group_size: 1
    .uses_dynamic_stack: false
    .vgpr_count:     136
    .vgpr_spill_count: 0
    .wavefront_size: 32
    .workgroup_processor_mode: 1
amdhsa.target:   amdgcn-amd-amdhsa--gfx1030
amdhsa.version:
  - 1
  - 2
...

	.end_amdgpu_metadata
